;; amdgpu-corpus repo=ROCm/rocFFT kind=compiled arch=gfx950 opt=O3
	.text
	.amdgcn_target "amdgcn-amd-amdhsa--gfx950"
	.amdhsa_code_object_version 6
	.protected	fft_rtc_fwd_len612_factors_17_3_6_2_wgs_51_tpt_51_halfLds_sp_ip_CI_unitstride_sbrr_C2R_dirReg ; -- Begin function fft_rtc_fwd_len612_factors_17_3_6_2_wgs_51_tpt_51_halfLds_sp_ip_CI_unitstride_sbrr_C2R_dirReg
	.globl	fft_rtc_fwd_len612_factors_17_3_6_2_wgs_51_tpt_51_halfLds_sp_ip_CI_unitstride_sbrr_C2R_dirReg
	.p2align	8
	.type	fft_rtc_fwd_len612_factors_17_3_6_2_wgs_51_tpt_51_halfLds_sp_ip_CI_unitstride_sbrr_C2R_dirReg,@function
fft_rtc_fwd_len612_factors_17_3_6_2_wgs_51_tpt_51_halfLds_sp_ip_CI_unitstride_sbrr_C2R_dirReg: ; @fft_rtc_fwd_len612_factors_17_3_6_2_wgs_51_tpt_51_halfLds_sp_ip_CI_unitstride_sbrr_C2R_dirReg
; %bb.0:
	s_load_dwordx2 s[8:9], s[0:1], 0x50
	s_load_dwordx4 s[4:7], s[0:1], 0x0
	s_load_dwordx2 s[10:11], s[0:1], 0x18
	v_mul_u32_u24_e32 v1, 0x506, v0
	v_add_u32_sdwa v6, s2, v1 dst_sel:DWORD dst_unused:UNUSED_PAD src0_sel:DWORD src1_sel:WORD_1
	v_mov_b32_e32 v4, 0
	s_waitcnt lgkmcnt(0)
	v_cmp_lt_u64_e64 s[2:3], s[6:7], 2
	v_mov_b32_e32 v7, v4
	s_and_b64 vcc, exec, s[2:3]
	v_mov_b64_e32 v[2:3], 0
	s_cbranch_vccnz .LBB0_8
; %bb.1:
	s_load_dwordx2 s[2:3], s[0:1], 0x10
	s_add_u32 s12, s10, 8
	s_addc_u32 s13, s11, 0
	s_mov_b64 s[14:15], 1
	v_mov_b64_e32 v[2:3], 0
	s_waitcnt lgkmcnt(0)
	s_add_u32 s16, s2, 8
	s_addc_u32 s17, s3, 0
.LBB0_2:                                ; =>This Inner Loop Header: Depth=1
	s_load_dwordx2 s[18:19], s[16:17], 0x0
                                        ; implicit-def: $vgpr8_vgpr9
	s_waitcnt lgkmcnt(0)
	v_or_b32_e32 v5, s19, v7
	v_cmp_ne_u64_e32 vcc, 0, v[4:5]
	s_and_saveexec_b64 s[2:3], vcc
	s_xor_b64 s[20:21], exec, s[2:3]
	s_cbranch_execz .LBB0_4
; %bb.3:                                ;   in Loop: Header=BB0_2 Depth=1
	v_cvt_f32_u32_e32 v1, s18
	v_cvt_f32_u32_e32 v5, s19
	s_sub_u32 s2, 0, s18
	s_subb_u32 s3, 0, s19
	v_fmac_f32_e32 v1, 0x4f800000, v5
	v_rcp_f32_e32 v1, v1
	s_nop 0
	v_mul_f32_e32 v1, 0x5f7ffffc, v1
	v_mul_f32_e32 v5, 0x2f800000, v1
	v_trunc_f32_e32 v5, v5
	v_fmac_f32_e32 v1, 0xcf800000, v5
	v_cvt_u32_f32_e32 v5, v5
	v_cvt_u32_f32_e32 v1, v1
	v_mul_lo_u32 v8, s2, v5
	v_mul_hi_u32 v10, s2, v1
	v_mul_lo_u32 v9, s3, v1
	v_add_u32_e32 v10, v10, v8
	v_mul_lo_u32 v12, s2, v1
	v_add_u32_e32 v13, v10, v9
	v_mul_hi_u32 v8, v1, v12
	v_mul_hi_u32 v11, v1, v13
	v_mul_lo_u32 v10, v1, v13
	v_mov_b32_e32 v9, v4
	v_lshl_add_u64 v[8:9], v[8:9], 0, v[10:11]
	v_mul_hi_u32 v11, v5, v12
	v_mul_lo_u32 v12, v5, v12
	v_add_co_u32_e32 v8, vcc, v8, v12
	v_mul_hi_u32 v10, v5, v13
	s_nop 0
	v_addc_co_u32_e32 v8, vcc, v9, v11, vcc
	v_mov_b32_e32 v9, v4
	s_nop 0
	v_addc_co_u32_e32 v11, vcc, 0, v10, vcc
	v_mul_lo_u32 v10, v5, v13
	v_lshl_add_u64 v[8:9], v[8:9], 0, v[10:11]
	v_add_co_u32_e32 v1, vcc, v1, v8
	v_mul_lo_u32 v10, s2, v1
	s_nop 0
	v_addc_co_u32_e32 v5, vcc, v5, v9, vcc
	v_mul_lo_u32 v8, s2, v5
	v_mul_hi_u32 v9, s2, v1
	v_add_u32_e32 v8, v9, v8
	v_mul_lo_u32 v9, s3, v1
	v_add_u32_e32 v12, v8, v9
	v_mul_hi_u32 v14, v5, v10
	v_mul_lo_u32 v15, v5, v10
	v_mul_hi_u32 v9, v1, v12
	v_mul_lo_u32 v8, v1, v12
	v_mul_hi_u32 v10, v1, v10
	v_mov_b32_e32 v11, v4
	v_lshl_add_u64 v[8:9], v[10:11], 0, v[8:9]
	v_add_co_u32_e32 v8, vcc, v8, v15
	v_mul_hi_u32 v13, v5, v12
	s_nop 0
	v_addc_co_u32_e32 v8, vcc, v9, v14, vcc
	v_mul_lo_u32 v10, v5, v12
	s_nop 0
	v_addc_co_u32_e32 v11, vcc, 0, v13, vcc
	v_mov_b32_e32 v9, v4
	v_lshl_add_u64 v[8:9], v[8:9], 0, v[10:11]
	v_add_co_u32_e32 v1, vcc, v1, v8
	v_mul_hi_u32 v10, v6, v1
	s_nop 0
	v_addc_co_u32_e32 v5, vcc, v5, v9, vcc
	v_mad_u64_u32 v[8:9], s[2:3], v6, v5, 0
	v_mov_b32_e32 v11, v4
	v_lshl_add_u64 v[8:9], v[10:11], 0, v[8:9]
	v_mad_u64_u32 v[12:13], s[2:3], v7, v1, 0
	v_add_co_u32_e32 v1, vcc, v8, v12
	v_mad_u64_u32 v[10:11], s[2:3], v7, v5, 0
	s_nop 0
	v_addc_co_u32_e32 v8, vcc, v9, v13, vcc
	v_mov_b32_e32 v9, v4
	s_nop 0
	v_addc_co_u32_e32 v11, vcc, 0, v11, vcc
	v_lshl_add_u64 v[8:9], v[8:9], 0, v[10:11]
	v_mul_lo_u32 v1, s19, v8
	v_mul_lo_u32 v5, s18, v9
	v_mad_u64_u32 v[10:11], s[2:3], s18, v8, 0
	v_add3_u32 v1, v11, v5, v1
	v_sub_u32_e32 v5, v7, v1
	v_mov_b32_e32 v11, s19
	v_sub_co_u32_e32 v14, vcc, v6, v10
	v_lshl_add_u64 v[12:13], v[8:9], 0, 1
	s_nop 0
	v_subb_co_u32_e64 v5, s[2:3], v5, v11, vcc
	v_subrev_co_u32_e64 v10, s[2:3], s18, v14
	v_subb_co_u32_e32 v1, vcc, v7, v1, vcc
	s_nop 0
	v_subbrev_co_u32_e64 v5, s[2:3], 0, v5, s[2:3]
	v_cmp_le_u32_e64 s[2:3], s19, v5
	v_cmp_le_u32_e32 vcc, s19, v1
	s_nop 0
	v_cndmask_b32_e64 v11, 0, -1, s[2:3]
	v_cmp_le_u32_e64 s[2:3], s18, v10
	s_nop 1
	v_cndmask_b32_e64 v10, 0, -1, s[2:3]
	v_cmp_eq_u32_e64 s[2:3], s19, v5
	s_nop 1
	v_cndmask_b32_e64 v5, v11, v10, s[2:3]
	v_lshl_add_u64 v[10:11], v[8:9], 0, 2
	v_cmp_ne_u32_e64 s[2:3], 0, v5
	s_nop 1
	v_cndmask_b32_e64 v5, v13, v11, s[2:3]
	v_cndmask_b32_e64 v11, 0, -1, vcc
	v_cmp_le_u32_e32 vcc, s18, v14
	s_nop 1
	v_cndmask_b32_e64 v13, 0, -1, vcc
	v_cmp_eq_u32_e32 vcc, s19, v1
	s_nop 1
	v_cndmask_b32_e32 v1, v11, v13, vcc
	v_cmp_ne_u32_e32 vcc, 0, v1
	v_cndmask_b32_e64 v1, v12, v10, s[2:3]
	s_nop 0
	v_cndmask_b32_e32 v9, v9, v5, vcc
	v_cndmask_b32_e32 v8, v8, v1, vcc
.LBB0_4:                                ;   in Loop: Header=BB0_2 Depth=1
	s_andn2_saveexec_b64 s[2:3], s[20:21]
	s_cbranch_execz .LBB0_6
; %bb.5:                                ;   in Loop: Header=BB0_2 Depth=1
	v_cvt_f32_u32_e32 v1, s18
	s_sub_i32 s20, 0, s18
	v_rcp_iflag_f32_e32 v1, v1
	s_nop 0
	v_mul_f32_e32 v1, 0x4f7ffffe, v1
	v_cvt_u32_f32_e32 v1, v1
	v_mul_lo_u32 v5, s20, v1
	v_mul_hi_u32 v5, v1, v5
	v_add_u32_e32 v1, v1, v5
	v_mul_hi_u32 v1, v6, v1
	v_mul_lo_u32 v5, v1, s18
	v_sub_u32_e32 v5, v6, v5
	v_add_u32_e32 v8, 1, v1
	v_subrev_u32_e32 v9, s18, v5
	v_cmp_le_u32_e32 vcc, s18, v5
	s_nop 1
	v_cndmask_b32_e32 v5, v5, v9, vcc
	v_cndmask_b32_e32 v1, v1, v8, vcc
	v_add_u32_e32 v8, 1, v1
	v_cmp_le_u32_e32 vcc, s18, v5
	v_mov_b32_e32 v9, v4
	s_nop 0
	v_cndmask_b32_e32 v8, v1, v8, vcc
.LBB0_6:                                ;   in Loop: Header=BB0_2 Depth=1
	s_or_b64 exec, exec, s[2:3]
	v_mad_u64_u32 v[10:11], s[2:3], v8, s18, 0
	s_load_dwordx2 s[2:3], s[12:13], 0x0
	v_mul_lo_u32 v1, v9, s18
	v_mul_lo_u32 v5, v8, s19
	v_add3_u32 v1, v11, v5, v1
	v_sub_co_u32_e32 v5, vcc, v6, v10
	s_add_u32 s14, s14, 1
	s_nop 0
	v_subb_co_u32_e32 v1, vcc, v7, v1, vcc
	s_addc_u32 s15, s15, 0
	s_waitcnt lgkmcnt(0)
	v_mul_lo_u32 v1, s2, v1
	v_mul_lo_u32 v6, s3, v5
	v_mad_u64_u32 v[2:3], s[2:3], s2, v5, v[2:3]
	s_add_u32 s12, s12, 8
	v_add3_u32 v3, v6, v3, v1
	s_addc_u32 s13, s13, 0
	v_mov_b64_e32 v[6:7], s[6:7]
	s_add_u32 s16, s16, 8
	v_cmp_ge_u64_e32 vcc, s[14:15], v[6:7]
	s_addc_u32 s17, s17, 0
	s_cbranch_vccnz .LBB0_9
; %bb.7:                                ;   in Loop: Header=BB0_2 Depth=1
	v_mov_b64_e32 v[6:7], v[8:9]
	s_branch .LBB0_2
.LBB0_8:
	v_mov_b64_e32 v[8:9], v[6:7]
.LBB0_9:
	s_lshl_b64 s[2:3], s[6:7], 3
	s_add_u32 s2, s10, s2
	s_addc_u32 s3, s11, s3
	s_load_dwordx2 s[6:7], s[2:3], 0x0
	s_load_dwordx2 s[10:11], s[0:1], 0x20
	s_mov_b32 s2, 0x5050506
	v_mov_b32_e32 v37, 0
	s_waitcnt lgkmcnt(0)
	v_mul_lo_u32 v1, s6, v9
	v_mul_lo_u32 v4, s7, v8
	v_mad_u64_u32 v[2:3], s[0:1], s6, v8, v[2:3]
	v_add3_u32 v3, v4, v3, v1
	v_mul_hi_u32 v1, v0, s2
	v_mul_u32_u24_e32 v1, 51, v1
	v_sub_u32_e32 v36, v0, v1
	v_cmp_gt_u64_e64 s[0:1], s[10:11], v[8:9]
	v_lshl_add_u64 v[202:203], v[2:3], 3, s[8:9]
	v_mov_b32_e32 v34, v36
	s_and_saveexec_b64 s[2:3], s[0:1]
	s_cbranch_execz .LBB0_13
; %bb.10:
	v_lshl_add_u64 v[0:1], v[36:37], 3, v[202:203]
	v_add_co_u32_e32 v18, vcc, 0x1000, v0
	global_load_dwordx2 v[2:3], v[0:1], off
	global_load_dwordx2 v[4:5], v[0:1], off offset:408
	global_load_dwordx2 v[6:7], v[0:1], off offset:816
	;; [unrolled: 1-line block ×7, first 2 shown]
	v_addc_co_u32_e32 v19, vcc, 0, v1, vcc
	global_load_dwordx2 v[20:21], v[0:1], off offset:3264
	global_load_dwordx2 v[22:23], v[0:1], off offset:3672
	;; [unrolled: 1-line block ×4, first 2 shown]
	v_lshl_add_u32 v0, v36, 3, 0
	v_add_u32_e32 v1, 0x800, v0
	v_cmp_eq_u32_e32 vcc, 50, v36
	v_add_u32_e32 v18, 0xc00, v0
	s_waitcnt vmcnt(10)
	ds_write2_b64 v0, v[2:3], v[4:5] offset1:51
	s_waitcnt vmcnt(8)
	ds_write2_b64 v0, v[6:7], v[8:9] offset0:102 offset1:153
	s_waitcnt vmcnt(6)
	ds_write2_b64 v0, v[10:11], v[12:13] offset0:204 offset1:255
	;; [unrolled: 2-line block ×5, first 2 shown]
	v_mov_b64_e32 v[0:1], v[36:37]
	s_and_saveexec_b64 s[6:7], vcc
	s_cbranch_execz .LBB0_12
; %bb.11:
	v_add_co_u32_e32 v0, vcc, 0x1000, v202
	v_mov_b32_e32 v2, 0
	s_nop 0
	v_addc_co_u32_e32 v1, vcc, 0, v203, vcc
	global_load_dwordx2 v[0:1], v[0:1], off offset:800
	v_mov_b32_e32 v36, 50
	s_waitcnt vmcnt(0)
	ds_write_b64 v2, v[0:1] offset:4896
	v_mov_b64_e32 v[0:1], 50
.LBB0_12:
	s_or_b64 exec, exec, s[6:7]
	v_mov_b32_e32 v34, v36
	v_mov_b64_e32 v[36:37], v[0:1]
.LBB0_13:
	s_or_b64 exec, exec, s[2:3]
	v_lshlrev_b32_e32 v0, 3, v34
	v_add_u32_e32 v200, 0, v0
	s_waitcnt lgkmcnt(0)
	; wave barrier
	s_waitcnt lgkmcnt(0)
	v_sub_u32_e32 v2, 0, v0
	ds_read_b32 v1, v200
	ds_read_b32 v3, v2 offset:4896
	s_add_u32 s2, s4, 0x1298
	s_addc_u32 s3, s5, 0
	v_cmp_ne_u32_e32 vcc, 0, v34
	s_waitcnt lgkmcnt(0)
	v_add_f32_e32 v0, v3, v1
	v_sub_f32_e32 v1, v1, v3
	s_and_saveexec_b64 s[6:7], vcc
	s_xor_b64 s[6:7], exec, s[6:7]
	s_cbranch_execz .LBB0_15
; %bb.14:
	v_lshl_add_u64 v[4:5], v[36:37], 3, s[2:3]
	global_load_dwordx2 v[4:5], v[4:5], off
	ds_read_b32 v3, v2 offset:4900
	ds_read_b32 v9, v200 offset:4
	v_mov_b32_e32 v6, v1
	v_mov_b32_e32 v8, v0
	;; [unrolled: 1-line block ×3, first 2 shown]
	s_waitcnt lgkmcnt(0)
	v_add_f32_e32 v7, v3, v9
	v_sub_f32_e32 v9, v9, v3
	v_mov_b32_e32 v10, v7
	s_waitcnt vmcnt(0)
	v_pk_mul_f32 v[12:13], v[6:7], v[4:5] op_sel:[0,1]
	v_pk_fma_f32 v[6:7], v[6:7], v[4:5], v[8:9] op_sel:[0,1,0]
	v_mov_b32_e32 v1, v13
	v_mov_b32_e32 v13, v9
	v_pk_fma_f32 v[14:15], v[4:5], v[10:11], v[6:7] neg_lo:[1,0,0] neg_hi:[1,0,0]
	v_pk_fma_f32 v[6:7], v[4:5], v[10:11], v[6:7] op_sel_hi:[0,1,1]
	v_pk_add_f32 v[0:1], v[0:1], v[12:13] neg_lo:[0,1] neg_hi:[0,1]
	v_mov_b32_e32 v15, v7
	v_pk_fma_f32 v[0:1], v[4:5], v[10:11], v[0:1] op_sel_hi:[0,1,1]
	ds_write_b64 v2, v[0:1] offset:4896
	v_mov_b64_e32 v[0:1], v[14:15]
.LBB0_15:
	s_andn2_saveexec_b64 s[6:7], s[6:7]
	s_cbranch_execz .LBB0_17
; %bb.16:
	v_mov_b32_e32 v3, 0
	ds_read_b64 v[4:5], v3 offset:2448
	s_mov_b32 s8, 2.0
	s_mov_b32 s9, -2.0
	s_waitcnt lgkmcnt(0)
	v_pk_mul_f32 v[4:5], v[4:5], s[8:9]
	ds_write_b64 v3, v[4:5] offset:2448
.LBB0_17:
	s_or_b64 exec, exec, s[6:7]
	v_mov_b32_e32 v35, 0
	v_lshl_add_u64 v[4:5], v[34:35], 3, s[2:3]
	global_load_dwordx2 v[6:7], v[4:5], off offset:408
	global_load_dwordx2 v[8:9], v[4:5], off offset:816
	;; [unrolled: 1-line block ×4, first 2 shown]
	ds_write_b64 v200, v[0:1]
	ds_read_b64 v[0:1], v2 offset:4488
	ds_read_b64 v[14:15], v200 offset:408
	global_load_dwordx2 v[4:5], v[4:5], off offset:2040
	v_add_u32_e32 v201, 0x800, v200
	v_add_u32_e32 v64, 0xc00, v200
	v_cmp_gt_u32_e32 vcc, 36, v34
	s_waitcnt lgkmcnt(0)
	v_pk_add_f32 v[16:17], v[14:15], v[0:1]
	v_pk_add_f32 v[0:1], v[14:15], v[0:1] neg_lo:[0,1] neg_hi:[0,1]
	v_mov_b32_e32 v14, v17
	v_mov_b32_e32 v15, v0
	v_mov_b32_e32 v17, v1
	s_waitcnt vmcnt(4)
	v_pk_mul_f32 v[18:19], v[14:15], v[6:7] op_sel:[0,1]
	s_nop 0
	v_pk_add_f32 v[20:21], v[16:17], v[18:19] op_sel:[0,1] op_sel_hi:[1,0]
	v_mov_b32_e32 v17, v18
	v_mov_b32_e32 v0, v19
	v_pk_fma_f32 v[18:19], v[6:7], v[14:15], v[20:21] neg_lo:[1,0,0] neg_hi:[1,0,0]
	v_pk_fma_f32 v[20:21], v[6:7], v[14:15], v[20:21] op_sel_hi:[0,1,1]
	v_pk_add_f32 v[0:1], v[16:17], v[0:1] neg_lo:[0,1] neg_hi:[0,1]
	v_mov_b32_e32 v19, v21
	v_pk_fma_f32 v[0:1], v[6:7], v[14:15], v[0:1] op_sel_hi:[0,1,1]
	ds_write_b64 v200, v[18:19] offset:408
	ds_write_b64 v2, v[0:1] offset:4488
	ds_read_b64 v[0:1], v2 offset:4080
	ds_read_b64 v[6:7], v200 offset:816
	s_waitcnt lgkmcnt(0)
	v_pk_add_f32 v[14:15], v[6:7], v[0:1]
	v_pk_add_f32 v[0:1], v[6:7], v[0:1] neg_lo:[0,1] neg_hi:[0,1]
	v_mov_b32_e32 v6, v15
	v_mov_b32_e32 v7, v0
	v_mov_b32_e32 v15, v1
	s_waitcnt vmcnt(3)
	v_pk_mul_f32 v[16:17], v[6:7], v[8:9] op_sel:[0,1]
	s_nop 0
	v_pk_add_f32 v[18:19], v[14:15], v[16:17] op_sel:[0,1] op_sel_hi:[1,0]
	v_mov_b32_e32 v15, v16
	v_mov_b32_e32 v0, v17
	v_pk_fma_f32 v[16:17], v[8:9], v[6:7], v[18:19] neg_lo:[1,0,0] neg_hi:[1,0,0]
	v_pk_fma_f32 v[18:19], v[8:9], v[6:7], v[18:19] op_sel_hi:[0,1,1]
	v_pk_add_f32 v[0:1], v[14:15], v[0:1] neg_lo:[0,1] neg_hi:[0,1]
	v_mov_b32_e32 v17, v19
	v_pk_fma_f32 v[0:1], v[8:9], v[6:7], v[0:1] op_sel_hi:[0,1,1]
	ds_write_b64 v200, v[16:17] offset:816
	ds_write_b64 v2, v[0:1] offset:4080
	ds_read_b64 v[0:1], v2 offset:3672
	ds_read_b64 v[6:7], v200 offset:1224
	;; [unrolled: 21-line block ×4, first 2 shown]
	s_waitcnt lgkmcnt(0)
	v_pk_add_f32 v[8:9], v[6:7], v[0:1]
	v_pk_add_f32 v[0:1], v[6:7], v[0:1] neg_lo:[0,1] neg_hi:[0,1]
	v_mov_b32_e32 v6, v9
	v_mov_b32_e32 v7, v0
	;; [unrolled: 1-line block ×3, first 2 shown]
	s_waitcnt vmcnt(0)
	v_pk_mul_f32 v[10:11], v[6:7], v[4:5] op_sel:[0,1]
	s_nop 0
	v_pk_add_f32 v[12:13], v[8:9], v[10:11] op_sel:[0,1] op_sel_hi:[1,0]
	v_mov_b32_e32 v9, v10
	v_mov_b32_e32 v0, v11
	v_pk_fma_f32 v[10:11], v[4:5], v[6:7], v[12:13] neg_lo:[1,0,0] neg_hi:[1,0,0]
	v_pk_fma_f32 v[12:13], v[4:5], v[6:7], v[12:13] op_sel_hi:[0,1,1]
	v_pk_add_f32 v[0:1], v[8:9], v[0:1] neg_lo:[0,1] neg_hi:[0,1]
	v_mov_b32_e32 v11, v13
	v_pk_fma_f32 v[0:1], v[4:5], v[6:7], v[0:1] op_sel_hi:[0,1,1]
	ds_write_b64 v200, v[10:11] offset:2040
	ds_write_b64 v2, v[0:1] offset:2856
	s_waitcnt lgkmcnt(0)
	; wave barrier
	s_waitcnt lgkmcnt(0)
	s_waitcnt lgkmcnt(0)
	; wave barrier
	s_waitcnt lgkmcnt(0)
	ds_read2_b64 v[0:3], v200 offset1:36
	ds_read2_b64 v[28:31], v200 offset0:72 offset1:108
	ds_read2_b64 v[24:27], v200 offset0:144 offset1:180
	;; [unrolled: 1-line block ×7, first 2 shown]
	ds_read_b64 v[48:49], v200 offset:4608
	s_waitcnt lgkmcnt(0)
	; wave barrier
	s_waitcnt lgkmcnt(0)
	s_and_saveexec_b64 s[2:3], vcc
	s_cbranch_execz .LBB0_19
; %bb.18:
	v_pk_add_f32 v[50:51], v[2:3], v[48:49] neg_lo:[0,1] neg_hi:[0,1]
	v_pk_add_f32 v[46:47], v[48:49], v[2:3]
	v_pk_add_f32 v[2:3], v[0:1], v[2:3]
	v_pk_add_f32 v[56:57], v[24:25], v[10:11] neg_lo:[0,1] neg_hi:[0,1]
	v_pk_add_f32 v[2:3], v[2:3], v[28:29]
	v_pk_add_f32 v[40:41], v[10:11], v[24:25]
	v_pk_add_f32 v[2:3], v[2:3], v[30:31]
	v_pk_add_f32 v[52:53], v[28:29], v[6:7] neg_lo:[0,1] neg_hi:[0,1]
	v_pk_add_f32 v[2:3], v[2:3], v[24:25]
	;; [unrolled: 4-line block ×3, first 2 shown]
	v_pk_add_f32 v[30:31], v[20:21], v[14:15] neg_lo:[0,1] neg_hi:[0,1]
	v_pk_add_f32 v[28:29], v[14:15], v[20:21]
	v_pk_add_f32 v[20:21], v[24:25], v[20:21]
	v_pk_add_f32 v[60:61], v[22:23], v[12:13] neg_lo:[0,1] neg_hi:[0,1]
	v_pk_add_f32 v[2:3], v[12:13], v[22:23]
	v_pk_add_f32 v[22:23], v[20:21], v[22:23]
	;; [unrolled: 3-line block ×4, first 2 shown]
	v_pk_add_f32 v[12:13], v[16:17], v[12:13]
	s_mov_b32 s36, 0x3f6eb680
	v_pk_add_f32 v[12:13], v[12:13], v[14:15]
	v_mov_b32_e32 v104, v46
	v_pk_add_f32 v[8:9], v[12:13], v[8:9]
	v_mov_b32_e32 v105, v50
	v_pk_add_f32 v[8:9], v[8:9], v[10:11]
	s_mov_b32 s37, 0xbeb8f4ab
	v_pk_add_f32 v[4:5], v[8:9], v[4:5]
	v_accvgpr_write_b32 a0, v64
	v_pk_add_f32 v[4:5], v[4:5], v[6:7]
	s_mov_b32 s42, 0x3f3d2fb0
	v_pk_add_f32 v[64:65], v[4:5], v[48:49]
	v_pk_mul_f32 v[4:5], v[104:105], s[36:37]
	v_mov_b32_e32 v46, v51
	s_mov_b32 s6, s37
	s_mov_b32 s7, s36
	v_accvgpr_write_b32 a4, v4
	v_mov_b32_e32 v122, v44
	v_mov_b32_e32 v123, v52
	s_mov_b32 s43, 0xbf2c7751
	v_pk_fma_f32 v[8:9], v[46:47], s[6:7], v[4:5] neg_lo:[1,0,0] neg_hi:[1,0,0]
	v_pk_fma_f32 v[6:7], v[46:47], s[6:7], v[4:5]
	v_accvgpr_write_b32 a5, v5
	v_pk_mul_f32 v[4:5], v[122:123], s[42:43]
	s_mov_b32 s54, 0x3ee437d1
	v_mov_b32_e32 v44, v53
	s_mov_b32 s8, s43
	s_mov_b32 s9, s42
	v_accvgpr_write_b32 a9, v5
	v_mov_b32_e32 v124, v42
	v_mov_b32_e32 v125, v54
	s_mov_b32 s55, 0xbf65296c
	v_mov_b32_e32 v9, v7
	v_accvgpr_write_b32 a2, v6
	v_pk_fma_f32 v[14:15], v[44:45], s[8:9], v[4:5] neg_lo:[1,0,0] neg_hi:[1,0,0]
	v_pk_fma_f32 v[6:7], v[44:45], s[8:9], v[4:5]
	v_accvgpr_write_b32 a8, v4
	v_pk_mul_f32 v[4:5], v[124:125], s[54:55]
	s_mov_b32 s44, 0x3dbcf732
	v_mov_b32_e32 v42, v55
	s_mov_b32 s10, s55
	s_mov_b32 s11, s54
	v_accvgpr_write_b32 a13, v5
	v_mov_b32_e32 v126, v40
	v_mov_b32_e32 v127, v56
	s_mov_b32 s45, 0xbf7ee86f
	v_mov_b32_e32 v15, v7
	v_accvgpr_write_b32 a6, v6
	v_pk_fma_f32 v[18:19], v[42:43], s[10:11], v[4:5] neg_lo:[1,0,0] neg_hi:[1,0,0]
	v_pk_fma_f32 v[6:7], v[42:43], s[10:11], v[4:5]
	v_accvgpr_write_b32 a12, v4
	v_pk_mul_f32 v[4:5], v[126:127], s[44:45]
	s_mov_b32 s38, 0xbe8c1d8e
	v_mov_b32_e32 v40, v57
	s_mov_b32 s12, s45
	s_mov_b32 s13, s44
	v_accvgpr_write_b32 a17, v5
	v_mov_b32_e32 v128, v38
	v_mov_b32_e32 v129, v58
	s_mov_b32 s39, 0xbf763a35
	v_pk_add_f32 v[12:13], v[0:1], v[8:9]
	v_mov_b32_e32 v19, v7
	v_accvgpr_write_b32 a10, v6
	v_pk_fma_f32 v[24:25], v[40:41], s[12:13], v[4:5] neg_lo:[1,0,0] neg_hi:[1,0,0]
	v_pk_fma_f32 v[6:7], v[40:41], s[12:13], v[4:5]
	v_accvgpr_write_b32 a16, v4
	v_pk_mul_f32 v[4:5], v[128:129], s[38:39]
	s_mov_b32 s40, 0xbf1a4643
	v_pk_add_f32 v[16:17], v[14:15], v[12:13]
	v_mov_b32_e32 v38, v59
	s_mov_b32 s14, s39
	s_mov_b32 s15, s38
	v_accvgpr_write_b32 a21, v5
	v_mov_b32_e32 v130, v28
	v_mov_b32_e32 v131, v30
	s_mov_b32 s41, 0xbf4c4adb
	v_pk_add_f32 v[22:23], v[18:19], v[16:17]
	v_mov_b32_e32 v25, v7
	v_accvgpr_write_b32 a14, v6
	v_pk_fma_f32 v[48:49], v[38:39], s[14:15], v[4:5] neg_lo:[1,0,0] neg_hi:[1,0,0]
	v_pk_fma_f32 v[6:7], v[38:39], s[14:15], v[4:5]
	v_accvgpr_write_b32 a20, v4
	v_mov_b32_e32 v28, v31
	s_mov_b32 s16, s41
	s_mov_b32 s17, s40
	v_pk_mul_f32 v[4:5], v[130:131], s[40:41]
	s_mov_b32 s46, 0xbf59a7d5
	v_pk_add_f32 v[26:27], v[24:25], v[22:23]
	v_mov_b32_e32 v49, v7
	v_accvgpr_write_b32 a18, v6
	v_pk_fma_f32 v[50:51], v[28:29], s[16:17], v[4:5] neg_lo:[1,0,0] neg_hi:[1,0,0]
	v_pk_fma_f32 v[6:7], v[28:29], s[16:17], v[4:5]
	v_accvgpr_write_b32 a25, v5
	v_mov_b32_e32 v132, v2
	v_mov_b32_e32 v133, v60
	s_mov_b32 s47, 0xbf06c442
	v_pk_add_f32 v[48:49], v[48:49], v[26:27]
	v_accvgpr_write_b32 a24, v4
	v_mov_b32_e32 v51, v7
	v_mov_b32_e32 v2, v61
	s_mov_b32 s18, s47
	s_mov_b32 s19, s46
	v_pk_mul_f32 v[4:5], v[132:133], s[46:47]
	s_mov_b32 s50, 0xbf7ba420
	v_pk_add_f32 v[52:53], v[50:51], v[48:49]
	v_pk_fma_f32 v[54:55], v[2:3], s[18:19], v[4:5] neg_lo:[1,0,0] neg_hi:[1,0,0]
	v_pk_fma_f32 v[50:51], v[2:3], s[18:19], v[4:5]
	v_accvgpr_write_b32 a27, v5
	v_mov_b32_e32 v134, v20
	v_mov_b32_e32 v135, v62
	s_mov_b32 s51, 0xbe3c28d5
	v_accvgpr_write_b32 a26, v4
	v_mov_b32_e32 v55, v51
	v_mov_b32_e32 v20, v63
	s_mov_b32 s20, s51
	s_mov_b32 s21, s50
	v_pk_mul_f32 v[4:5], v[134:135], s[50:51]
	v_pk_add_f32 v[56:57], v[54:55], v[52:53]
	v_pk_fma_f32 v[58:59], v[20:21], s[20:21], v[4:5] neg_lo:[1,0,0] neg_hi:[1,0,0]
	v_pk_fma_f32 v[52:53], v[20:21], s[20:21], v[4:5]
	v_accvgpr_write_b32 a29, v5
	v_mov_b32_e32 v59, v53
	v_accvgpr_write_b32 a28, v4
	v_pk_add_f32 v[56:57], v[58:59], v[56:57]
	v_lshl_add_u32 v48, v34, 7, v200
	v_pk_mul_f32 v[4:5], v[104:105], s[42:43]
	ds_write2_b64 v48, v[64:65], v[56:57] offset1:1
	v_pk_fma_f32 v[60:61], v[46:47], s[8:9], v[4:5] neg_lo:[1,0,0] neg_hi:[1,0,0]
	v_pk_fma_f32 v[56:57], v[46:47], s[8:9], v[4:5]
	v_accvgpr_write_b32 a31, v5
	v_accvgpr_write_b32 a30, v4
	v_mov_b32_e32 v61, v57
	v_pk_mul_f32 v[4:5], v[122:123], s[44:45]
	v_pk_add_f32 v[64:65], v[0:1], v[60:61]
	v_pk_fma_f32 v[66:67], v[44:45], s[12:13], v[4:5] neg_lo:[1,0,0] neg_hi:[1,0,0]
	v_pk_fma_f32 v[60:61], v[44:45], s[12:13], v[4:5]
	s_mov_b32 s63, 0x3f06c442
	v_mov_b32_e32 v67, v61
	v_pk_add_f32 v[68:69], v[66:67], v[64:65]
	v_pk_mul_f32 v[66:67], v[124:125], s[40:41]
	s_mov_b32 s62, s46
	v_pk_fma_f32 v[70:71], v[42:43], s[16:17], v[66:67] neg_lo:[1,0,0] neg_hi:[1,0,0]
	v_pk_fma_f32 v[64:65], v[42:43], s[16:17], v[66:67]
	s_mov_b32 s22, s63
	v_mov_b32_e32 v71, v65
	v_pk_add_f32 v[72:73], v[70:71], v[68:69]
	v_pk_mul_f32 v[70:71], v[126:127], s[50:51]
	s_mov_b32 s23, s46
	;; [unrolled: 7-line block ×3, first 2 shown]
	v_pk_fma_f32 v[78:79], v[38:39], s[22:23], v[74:75] neg_lo:[1,0,0] neg_hi:[1,0,0]
	v_pk_fma_f32 v[72:73], v[38:39], s[22:23], v[74:75]
	s_mov_b32 s24, s61
	v_mov_b32_e32 v79, v73
	v_pk_add_f32 v[80:81], v[78:79], v[76:77]
	s_mov_b32 s25, s38
	v_pk_mul_f32 v[78:79], v[130:131], s[60:61]
	s_mov_b32 s53, 0x3f65296c
	v_pk_fma_f32 v[82:83], v[28:29], s[24:25], v[78:79] neg_lo:[1,0,0] neg_hi:[1,0,0]
	v_pk_fma_f32 v[76:77], v[28:29], s[24:25], v[78:79]
	s_mov_b32 s52, s54
	v_mov_b32_e32 v83, v77
	v_pk_add_f32 v[84:85], v[82:83], v[80:81]
	s_mov_b32 s26, s53
	s_mov_b32 s27, s54
	v_pk_mul_f32 v[82:83], v[132:133], s[52:53]
	s_mov_b32 s57, 0x3eb8f4ab
	v_pk_fma_f32 v[86:87], v[2:3], s[26:27], v[82:83] neg_lo:[1,0,0] neg_hi:[1,0,0]
	v_pk_fma_f32 v[80:81], v[2:3], s[26:27], v[82:83]
	s_mov_b32 s56, s36
	v_mov_b32_e32 v87, v81
	v_pk_add_f32 v[88:89], v[86:87], v[84:85]
	s_mov_b32 s28, s57
	s_mov_b32 s29, s36
	v_pk_mul_f32 v[86:87], v[134:135], s[56:57]
	v_pk_mul_f32 v[62:63], v[122:123], s[40:41]
	v_pk_fma_f32 v[90:91], v[20:21], s[28:29], v[86:87] neg_lo:[1,0,0] neg_hi:[1,0,0]
	v_pk_fma_f32 v[84:85], v[20:21], s[28:29], v[86:87]
	v_pk_fma_f32 v[98:99], v[44:45], s[16:17], v[62:63] neg_lo:[1,0,0] neg_hi:[1,0,0]
	v_mov_b32_e32 v91, v85
	v_pk_add_f32 v[136:137], v[90:91], v[88:89]
	v_pk_mul_f32 v[90:91], v[104:105], s[54:55]
	s_mov_b32 s35, 0x3e3c28d5
	v_pk_fma_f32 v[92:93], v[46:47], s[10:11], v[90:91] neg_lo:[1,0,0] neg_hi:[1,0,0]
	v_pk_fma_f32 v[88:89], v[46:47], s[10:11], v[90:91]
	s_mov_b32 s34, s50
	v_mov_b32_e32 v93, v89
	v_pk_add_f32 v[96:97], v[0:1], v[92:93]
	v_pk_fma_f32 v[92:93], v[44:45], s[16:17], v[62:63]
	s_mov_b32 s30, s35
	v_mov_b32_e32 v99, v93
	v_pk_add_f32 v[100:101], v[98:99], v[96:97]
	s_mov_b32 s31, s50
	v_pk_mul_f32 v[98:99], v[124:125], s[34:35]
	s_mov_b32 s59, 0x3f2c7751
	v_pk_fma_f32 v[102:103], v[42:43], s[30:31], v[98:99] neg_lo:[1,0,0] neg_hi:[1,0,0]
	v_pk_fma_f32 v[96:97], v[42:43], s[30:31], v[98:99]
	s_mov_b32 s58, s42
	v_mov_b32_e32 v103, v97
	v_pk_add_f32 v[106:107], v[102:103], v[100:101]
	v_pk_mul_f32 v[102:103], v[126:127], s[60:61]
	s_mov_b32 s34, s59
	v_pk_fma_f32 v[108:109], v[40:41], s[24:25], v[102:103] neg_lo:[1,0,0] neg_hi:[1,0,0]
	v_pk_fma_f32 v[100:101], v[40:41], s[24:25], v[102:103]
	s_mov_b32 s35, s42
	v_mov_b32_e32 v109, v101
	v_pk_add_f32 v[110:111], v[108:109], v[106:107]
	v_pk_mul_f32 v[108:109], v[128:129], s[58:59]
	v_pk_mul_f32 v[58:59], v[122:123], s[50:51]
	v_pk_fma_f32 v[112:113], v[38:39], s[34:35], v[108:109] neg_lo:[1,0,0] neg_hi:[1,0,0]
	v_pk_fma_f32 v[106:107], v[38:39], s[34:35], v[108:109]
	v_pk_fma_f32 v[146:147], v[44:45], s[20:21], v[58:59] neg_lo:[1,0,0] neg_hi:[1,0,0]
	v_mov_b32_e32 v113, v107
	v_pk_add_f32 v[114:115], v[112:113], v[110:111]
	v_pk_mul_f32 v[112:113], v[130:131], s[36:37]
	s_mov_b32 s65, 0x3f4c4adb
	v_pk_fma_f32 v[116:117], v[28:29], s[6:7], v[112:113] neg_lo:[1,0,0] neg_hi:[1,0,0]
	v_pk_fma_f32 v[110:111], v[28:29], s[6:7], v[112:113]
	s_mov_b32 s64, s40
	v_mov_b32_e32 v117, v111
	v_pk_add_f32 v[118:119], v[116:117], v[114:115]
	v_pk_mul_f32 v[116:117], v[132:133], s[44:45]
	s_mov_b32 s48, s65
	v_pk_fma_f32 v[120:121], v[2:3], s[12:13], v[116:117] neg_lo:[1,0,0] neg_hi:[1,0,0]
	v_pk_fma_f32 v[114:115], v[2:3], s[12:13], v[116:117]
	s_mov_b32 s49, s40
	v_mov_b32_e32 v121, v115
	v_pk_add_f32 v[138:139], v[120:121], v[118:119]
	v_pk_mul_f32 v[120:121], v[134:135], s[46:47]
	v_pk_mul_f32 v[54:55], v[122:123], s[62:63]
	v_pk_fma_f32 v[140:141], v[20:21], s[18:19], v[120:121] neg_lo:[1,0,0] neg_hi:[1,0,0]
	v_pk_fma_f32 v[118:119], v[20:21], s[18:19], v[120:121]
	v_pk_fma_f32 v[178:179], v[44:45], s[22:23], v[54:55] neg_lo:[1,0,0] neg_hi:[1,0,0]
	v_mov_b32_e32 v141, v119
	v_pk_add_f32 v[138:139], v[140:141], v[138:139]
	ds_write2_b64 v48, v[136:137], v[138:139] offset0:2 offset1:3
	v_pk_mul_f32 v[138:139], v[104:105], s[44:45]
	s_mov_b32 s63, 0x3f7ee86f
	v_pk_fma_f32 v[140:141], v[46:47], s[12:13], v[138:139] neg_lo:[1,0,0] neg_hi:[1,0,0]
	v_pk_fma_f32 v[136:137], v[46:47], s[12:13], v[138:139]
	s_mov_b32 s62, s44
	v_mov_b32_e32 v141, v137
	v_pk_add_f32 v[144:145], v[0:1], v[140:141]
	v_pk_fma_f32 v[140:141], v[44:45], s[20:21], v[58:59]
	v_pk_mul_f32 v[210:211], v[122:123], s[60:61]
	v_mov_b32_e32 v147, v141
	v_pk_add_f32 v[148:149], v[146:147], v[144:145]
	v_pk_mul_f32 v[146:147], v[124:125], s[60:61]
	v_pk_fma_f32 v[212:213], v[44:45], s[24:25], v[210:211] neg_lo:[1,0,0] neg_hi:[1,0,0]
	v_pk_fma_f32 v[150:151], v[42:43], s[24:25], v[146:147] neg_lo:[1,0,0] neg_hi:[1,0,0]
	v_pk_fma_f32 v[144:145], v[42:43], s[24:25], v[146:147]
	v_pk_fma_f32 v[214:215], v[44:45], s[24:25], v[210:211]
	v_mov_b32_e32 v151, v145
	v_pk_add_f32 v[152:153], v[150:151], v[148:149]
	v_pk_mul_f32 v[150:151], v[126:127], s[56:57]
	v_mov_b32_e32 v213, v215
	v_pk_fma_f32 v[154:155], v[40:41], s[28:29], v[150:151] neg_lo:[1,0,0] neg_hi:[1,0,0]
	v_pk_fma_f32 v[148:149], v[40:41], s[28:29], v[150:151]
	v_pk_mul_f32 v[244:245], v[122:123], s[52:53]
	v_mov_b32_e32 v155, v149
	v_pk_add_f32 v[156:157], v[154:155], v[152:153]
	v_pk_mul_f32 v[154:155], v[128:129], s[54:55]
	v_pk_fma_f32 v[246:247], v[44:45], s[26:27], v[244:245] neg_lo:[1,0,0] neg_hi:[1,0,0]
	v_pk_fma_f32 v[158:159], v[38:39], s[10:11], v[154:155] neg_lo:[1,0,0] neg_hi:[1,0,0]
	v_pk_fma_f32 v[152:153], v[38:39], s[10:11], v[154:155]
	v_pk_fma_f32 v[248:249], v[44:45], s[26:27], v[244:245]
	v_mov_b32_e32 v159, v153
	v_pk_add_f32 v[160:161], v[158:159], v[156:157]
	v_pk_mul_f32 v[158:159], v[130:131], s[46:47]
	v_mov_b32_e32 v247, v249
	v_pk_fma_f32 v[162:163], v[28:29], s[18:19], v[158:159] neg_lo:[1,0,0] neg_hi:[1,0,0]
	v_pk_fma_f32 v[156:157], v[28:29], s[18:19], v[158:159]
	v_accvgpr_write_b32 a33, v5
	v_mov_b32_e32 v163, v157
	v_pk_add_f32 v[164:165], v[162:163], v[160:161]
	v_pk_mul_f32 v[162:163], v[132:133], s[64:65]
	v_accvgpr_write_b32 a32, v4
	v_pk_fma_f32 v[166:167], v[2:3], s[48:49], v[162:163] neg_lo:[1,0,0] neg_hi:[1,0,0]
	v_pk_fma_f32 v[160:161], v[2:3], s[48:49], v[162:163]
	v_accvgpr_write_b32 a22, v6
	v_mov_b32_e32 v167, v161
	v_pk_add_f32 v[168:169], v[166:167], v[164:165]
	v_pk_mul_f32 v[166:167], v[134:135], s[58:59]
	v_pk_mul_f32 v[122:123], v[122:123], s[56:57]
	v_pk_fma_f32 v[170:171], v[20:21], s[34:35], v[166:167] neg_lo:[1,0,0] neg_hi:[1,0,0]
	v_pk_fma_f32 v[164:165], v[20:21], s[34:35], v[166:167]
	v_pk_fma_f32 v[14:15], v[44:45], s[28:29], v[122:123]
	v_mov_b32_e32 v171, v165
	v_pk_add_f32 v[204:205], v[170:171], v[168:169]
	v_pk_mul_f32 v[170:171], v[104:105], s[38:39]
	s_nop 0
	v_pk_fma_f32 v[172:173], v[46:47], s[14:15], v[170:171] neg_lo:[1,0,0] neg_hi:[1,0,0]
	v_pk_fma_f32 v[168:169], v[46:47], s[14:15], v[170:171]
	s_nop 0
	v_mov_b32_e32 v173, v169
	v_pk_add_f32 v[176:177], v[0:1], v[172:173]
	v_pk_fma_f32 v[172:173], v[44:45], s[22:23], v[54:55]
	s_nop 0
	v_mov_b32_e32 v179, v173
	v_pk_add_f32 v[180:181], v[178:179], v[176:177]
	v_pk_mul_f32 v[178:179], v[124:125], s[58:59]
	s_nop 0
	v_pk_fma_f32 v[182:183], v[42:43], s[34:35], v[178:179] neg_lo:[1,0,0] neg_hi:[1,0,0]
	v_pk_fma_f32 v[176:177], v[42:43], s[34:35], v[178:179]
	s_nop 0
	v_mov_b32_e32 v183, v177
	v_pk_add_f32 v[184:185], v[182:183], v[180:181]
	v_pk_mul_f32 v[182:183], v[126:127], s[54:55]
	s_mov_b32 s54, s63
	v_pk_fma_f32 v[186:187], v[40:41], s[10:11], v[182:183] neg_lo:[1,0,0] neg_hi:[1,0,0]
	v_pk_fma_f32 v[180:181], v[40:41], s[10:11], v[182:183]
	s_mov_b32 s55, s44
	v_mov_b32_e32 v187, v181
	v_pk_add_f32 v[188:189], v[186:187], v[184:185]
	v_pk_mul_f32 v[186:187], v[128:129], s[50:51]
	s_nop 0
	v_pk_fma_f32 v[190:191], v[38:39], s[20:21], v[186:187] neg_lo:[1,0,0] neg_hi:[1,0,0]
	v_pk_fma_f32 v[184:185], v[38:39], s[20:21], v[186:187]
	s_nop 0
	v_mov_b32_e32 v191, v185
	v_pk_add_f32 v[192:193], v[190:191], v[188:189]
	v_pk_mul_f32 v[190:191], v[130:131], s[62:63]
	s_nop 0
	v_pk_fma_f32 v[194:195], v[28:29], s[54:55], v[190:191] neg_lo:[1,0,0] neg_hi:[1,0,0]
	v_pk_fma_f32 v[188:189], v[28:29], s[54:55], v[190:191]
	s_nop 0
	;; [unrolled: 7-line block ×4, first 2 shown]
	v_mov_b32_e32 v209, v197
	v_pk_add_f32 v[206:207], v[208:209], v[206:207]
	ds_write2_b64 v48, v[204:205], v[206:207] offset0:4 offset1:5
	v_pk_mul_f32 v[204:205], v[104:105], s[40:41]
	s_nop 0
	v_pk_fma_f32 v[206:207], v[46:47], s[16:17], v[204:205] neg_lo:[1,0,0] neg_hi:[1,0,0]
	v_pk_fma_f32 v[208:209], v[46:47], s[16:17], v[204:205]
	s_nop 0
	v_mov_b32_e32 v207, v209
	v_pk_add_f32 v[206:207], v[0:1], v[206:207]
	s_nop 0
	v_pk_add_f32 v[206:207], v[212:213], v[206:207]
	v_pk_mul_f32 v[212:213], v[124:125], s[36:37]
	s_nop 0
	v_pk_fma_f32 v[216:217], v[42:43], s[6:7], v[212:213] neg_lo:[1,0,0] neg_hi:[1,0,0]
	v_pk_fma_f32 v[218:219], v[42:43], s[6:7], v[212:213]
	s_nop 0
	v_mov_b32_e32 v217, v219
	v_pk_add_f32 v[206:207], v[216:217], v[206:207]
	v_pk_mul_f32 v[216:217], v[126:127], s[46:47]
	s_nop 0
	v_pk_fma_f32 v[220:221], v[40:41], s[18:19], v[216:217] neg_lo:[1,0,0] neg_hi:[1,0,0]
	v_pk_fma_f32 v[222:223], v[40:41], s[18:19], v[216:217]
	s_nop 0
	v_mov_b32_e32 v221, v223
	;; [unrolled: 7-line block ×7, first 2 shown]
	v_pk_add_f32 v[240:241], v[0:1], v[240:241]
	s_nop 0
	v_pk_add_f32 v[240:241], v[246:247], v[240:241]
	v_pk_mul_f32 v[246:247], v[124:125], s[44:45]
	v_pk_mul_f32 v[124:125], v[124:125], s[46:47]
	v_pk_fma_f32 v[250:251], v[42:43], s[12:13], v[246:247] neg_lo:[1,0,0] neg_hi:[1,0,0]
	v_pk_fma_f32 v[252:253], v[42:43], s[12:13], v[246:247]
	v_pk_fma_f32 v[16:17], v[42:43], s[18:19], v[124:125]
	v_mov_b32_e32 v251, v253
	v_pk_add_f32 v[240:241], v[250:251], v[240:241]
	v_pk_mul_f32 v[250:251], v[126:127], s[64:65]
	v_pk_mul_f32 v[126:127], v[126:127], s[58:59]
	v_pk_fma_f32 v[254:255], v[40:41], s[48:49], v[250:251] neg_lo:[1,0,0] neg_hi:[1,0,0]
	v_pk_fma_f32 v[32:33], v[40:41], s[48:49], v[250:251]
	v_pk_fma_f32 v[18:19], v[40:41], s[34:35], v[126:127]
	v_mov_b32_e32 v255, v33
	;; [unrolled: 7-line block ×6, first 2 shown]
	v_pk_add_f32 v[6:7], v[10:11], v[6:7]
	ds_write2_b64 v48, v[206:207], v[6:7] offset0:6 offset1:7
	v_pk_mul_f32 v[6:7], v[104:105], s[50:51]
	v_pk_fma_f32 v[206:207], v[44:45], s[28:29], v[122:123] neg_lo:[1,0,0] neg_hi:[1,0,0]
	v_pk_fma_f32 v[10:11], v[46:47], s[20:21], v[6:7] neg_lo:[1,0,0] neg_hi:[1,0,0]
	v_pk_fma_f32 v[104:105], v[46:47], s[20:21], v[6:7]
	v_mov_b32_e32 v207, v15
	v_mov_b32_e32 v11, v105
	v_pk_add_f32 v[10:11], v[0:1], v[10:11]
	v_pk_fma_f32 v[6:7], v[46:47], s[20:21], v[6:7] neg_lo:[0,0,1] neg_hi:[0,0,1]
	v_pk_add_f32 v[10:11], v[206:207], v[10:11]
	v_pk_fma_f32 v[206:207], v[42:43], s[18:19], v[124:125] neg_lo:[1,0,0] neg_hi:[1,0,0]
	v_mov_b32_e32 v105, v7
	v_mov_b32_e32 v207, v17
	v_pk_add_f32 v[10:11], v[206:207], v[10:11]
	v_pk_fma_f32 v[206:207], v[40:41], s[34:35], v[126:127] neg_lo:[1,0,0] neg_hi:[1,0,0]
	v_pk_fma_f32 v[6:7], v[44:45], s[28:29], v[122:123] neg_lo:[0,0,1] neg_hi:[0,0,1]
	v_mov_b32_e32 v207, v19
	v_pk_add_f32 v[10:11], v[206:207], v[10:11]
	v_pk_fma_f32 v[206:207], v[38:39], s[16:17], v[128:129] neg_lo:[1,0,0] neg_hi:[1,0,0]
	v_mov_b32_e32 v15, v7
	v_pk_add_f32 v[6:7], v[0:1], v[104:105]
	v_mov_b32_e32 v207, v23
	v_pk_add_f32 v[6:7], v[14:15], v[6:7]
	v_pk_fma_f32 v[14:15], v[42:43], s[18:19], v[124:125] neg_lo:[0,0,1] neg_hi:[0,0,1]
	v_pk_add_f32 v[10:11], v[206:207], v[10:11]
	v_pk_fma_f32 v[206:207], v[28:29], s[26:27], v[130:131] neg_lo:[1,0,0] neg_hi:[1,0,0]
	v_mov_b32_e32 v17, v15
	v_pk_fma_f32 v[14:15], v[40:41], s[34:35], v[126:127] neg_lo:[0,0,1] neg_hi:[0,0,1]
	v_mov_b32_e32 v207, v25
	v_pk_add_f32 v[6:7], v[16:17], v[6:7]
	v_mov_b32_e32 v19, v15
	v_pk_fma_f32 v[14:15], v[38:39], s[16:17], v[128:129] neg_lo:[0,0,1] neg_hi:[0,0,1]
	v_pk_add_f32 v[10:11], v[206:207], v[10:11]
	v_pk_fma_f32 v[206:207], v[2:3], s[14:15], v[132:133] neg_lo:[1,0,0] neg_hi:[1,0,0]
	v_pk_add_f32 v[6:7], v[18:19], v[6:7]
	v_mov_b32_e32 v23, v15
	v_pk_fma_f32 v[14:15], v[28:29], s[26:27], v[130:131] neg_lo:[0,0,1] neg_hi:[0,0,1]
	v_mov_b32_e32 v207, v27
	v_pk_add_f32 v[6:7], v[22:23], v[6:7]
	v_mov_b32_e32 v25, v15
	v_pk_fma_f32 v[14:15], v[2:3], s[14:15], v[132:133] neg_lo:[0,0,1] neg_hi:[0,0,1]
	v_pk_add_f32 v[10:11], v[206:207], v[10:11]
	v_pk_fma_f32 v[206:207], v[20:21], s[54:55], v[134:135] neg_lo:[1,0,0] neg_hi:[1,0,0]
	v_pk_add_f32 v[6:7], v[24:25], v[6:7]
	v_mov_b32_e32 v27, v15
	v_pk_fma_f32 v[14:15], v[20:21], s[54:55], v[134:135] neg_lo:[0,0,1] neg_hi:[0,0,1]
	v_mov_b32_e32 v207, v31
	v_pk_add_f32 v[6:7], v[26:27], v[6:7]
	v_mov_b32_e32 v31, v15
	v_pk_add_f32 v[10:11], v[206:207], v[10:11]
	v_pk_add_f32 v[6:7], v[30:31], v[6:7]
	ds_write2_b64 v48, v[10:11], v[6:7] offset0:8 offset1:9
	v_pk_fma_f32 v[6:7], v[46:47], s[18:19], v[236:237] neg_lo:[0,0,1] neg_hi:[0,0,1]
	v_pk_fma_f32 v[10:11], v[42:43], s[12:13], v[246:247] neg_lo:[0,0,1] neg_hi:[0,0,1]
	v_mov_b32_e32 v243, v7
	v_pk_fma_f32 v[6:7], v[44:45], s[26:27], v[244:245] neg_lo:[0,0,1] neg_hi:[0,0,1]
	v_mov_b32_e32 v253, v11
	v_mov_b32_e32 v249, v7
	v_pk_add_f32 v[6:7], v[0:1], v[242:243]
	v_pk_fma_f32 v[10:11], v[40:41], s[48:49], v[250:251] neg_lo:[0,0,1] neg_hi:[0,0,1]
	v_pk_add_f32 v[6:7], v[248:249], v[6:7]
	v_mov_b32_e32 v33, v11
	v_pk_add_f32 v[6:7], v[252:253], v[6:7]
	v_pk_fma_f32 v[10:11], v[38:39], s[6:7], v[254:255] neg_lo:[0,0,1] neg_hi:[0,0,1]
	v_pk_add_f32 v[6:7], v[32:33], v[6:7]
	v_mov_b32_e32 v143, v11
	v_pk_fma_f32 v[10:11], v[28:29], s[20:21], v[240:241] neg_lo:[0,0,1] neg_hi:[0,0,1]
	v_pk_add_f32 v[6:7], v[142:143], v[6:7]
	v_mov_b32_e32 v5, v11
	v_pk_add_f32 v[4:5], v[4:5], v[6:7]
	v_pk_fma_f32 v[6:7], v[2:3], s[34:35], v[174:175] neg_lo:[0,0,1] neg_hi:[0,0,1]
	s_nop 0
	v_mov_b32_e32 v9, v7
	v_pk_fma_f32 v[6:7], v[20:21], s[14:15], v[94:95] neg_lo:[0,0,1] neg_hi:[0,0,1]
	v_pk_add_f32 v[4:5], v[8:9], v[4:5]
	v_mov_b32_e32 v13, v7
	v_pk_fma_f32 v[6:7], v[46:47], s[16:17], v[204:205] neg_lo:[0,0,1] neg_hi:[0,0,1]
	v_pk_fma_f32 v[8:9], v[42:43], s[6:7], v[212:213] neg_lo:[0,0,1] neg_hi:[0,0,1]
	v_mov_b32_e32 v209, v7
	v_pk_fma_f32 v[6:7], v[44:45], s[24:25], v[210:211] neg_lo:[0,0,1] neg_hi:[0,0,1]
	v_mov_b32_e32 v219, v9
	v_mov_b32_e32 v215, v7
	v_pk_add_f32 v[6:7], v[0:1], v[208:209]
	v_pk_fma_f32 v[8:9], v[40:41], s[18:19], v[216:217] neg_lo:[0,0,1] neg_hi:[0,0,1]
	v_pk_add_f32 v[6:7], v[214:215], v[6:7]
	v_mov_b32_e32 v223, v9
	v_pk_add_f32 v[6:7], v[218:219], v[6:7]
	v_pk_fma_f32 v[8:9], v[38:39], s[54:55], v[220:221] neg_lo:[0,0,1] neg_hi:[0,0,1]
	v_pk_add_f32 v[6:7], v[222:223], v[6:7]
	v_mov_b32_e32 v227, v9
	v_pk_fma_f32 v[8:9], v[28:29], s[8:9], v[224:225] neg_lo:[0,0,1] neg_hi:[0,0,1]
	v_pk_add_f32 v[6:7], v[226:227], v[6:7]
	v_mov_b32_e32 v231, v9
	;; [unrolled: 3-line block ×4, first 2 shown]
	v_pk_add_f32 v[4:5], v[12:13], v[4:5]
	v_pk_add_f32 v[6:7], v[238:239], v[6:7]
	ds_write2_b64 v48, v[4:5], v[6:7] offset0:10 offset1:11
	v_pk_fma_f32 v[6:7], v[42:43], s[34:35], v[178:179] neg_lo:[0,0,1] neg_hi:[0,0,1]
	v_pk_fma_f32 v[4:5], v[46:47], s[14:15], v[170:171] neg_lo:[0,0,1] neg_hi:[0,0,1]
	v_mov_b32_e32 v177, v7
	v_pk_fma_f32 v[6:7], v[40:41], s[10:11], v[182:183] neg_lo:[0,0,1] neg_hi:[0,0,1]
	v_mov_b32_e32 v169, v5
	v_mov_b32_e32 v181, v7
	v_pk_fma_f32 v[6:7], v[38:39], s[20:21], v[186:187] neg_lo:[0,0,1] neg_hi:[0,0,1]
	v_pk_fma_f32 v[4:5], v[44:45], s[22:23], v[54:55] neg_lo:[0,0,1] neg_hi:[0,0,1]
	v_mov_b32_e32 v185, v7
	v_pk_fma_f32 v[6:7], v[28:29], s[54:55], v[190:191] neg_lo:[0,0,1] neg_hi:[0,0,1]
	v_mov_b32_e32 v173, v5
	v_mov_b32_e32 v189, v7
	v_pk_fma_f32 v[6:7], v[2:3], s[6:7], v[194:195] neg_lo:[0,0,1] neg_hi:[0,0,1]
	v_pk_add_f32 v[4:5], v[0:1], v[168:169]
	v_mov_b32_e32 v193, v7
	v_pk_fma_f32 v[6:7], v[20:21], s[16:17], v[198:199] neg_lo:[0,0,1] neg_hi:[0,0,1]
	v_pk_fma_f32 v[8:9], v[42:43], s[24:25], v[146:147] neg_lo:[0,0,1] neg_hi:[0,0,1]
	v_mov_b32_e32 v197, v7
	v_pk_fma_f32 v[6:7], v[46:47], s[12:13], v[138:139] neg_lo:[0,0,1] neg_hi:[0,0,1]
	v_pk_add_f32 v[4:5], v[172:173], v[4:5]
	v_mov_b32_e32 v137, v7
	v_pk_fma_f32 v[6:7], v[44:45], s[20:21], v[58:59] neg_lo:[0,0,1] neg_hi:[0,0,1]
	v_mov_b32_e32 v145, v9
	v_mov_b32_e32 v141, v7
	v_pk_add_f32 v[6:7], v[0:1], v[136:137]
	v_pk_fma_f32 v[8:9], v[40:41], s[28:29], v[150:151] neg_lo:[0,0,1] neg_hi:[0,0,1]
	v_pk_add_f32 v[6:7], v[140:141], v[6:7]
	v_pk_add_f32 v[4:5], v[176:177], v[4:5]
	;; [unrolled: 1-line block ×3, first 2 shown]
	v_mov_b32_e32 v149, v9
	v_pk_fma_f32 v[8:9], v[38:39], s[10:11], v[154:155] neg_lo:[0,0,1] neg_hi:[0,0,1]
	v_pk_add_f32 v[4:5], v[180:181], v[4:5]
	v_pk_add_f32 v[6:7], v[148:149], v[6:7]
	v_mov_b32_e32 v153, v9
	v_pk_fma_f32 v[8:9], v[28:29], s[18:19], v[158:159] neg_lo:[0,0,1] neg_hi:[0,0,1]
	v_pk_add_f32 v[4:5], v[184:185], v[4:5]
	v_pk_add_f32 v[6:7], v[152:153], v[6:7]
	v_mov_b32_e32 v157, v9
	v_pk_fma_f32 v[8:9], v[2:3], s[48:49], v[162:163] neg_lo:[0,0,1] neg_hi:[0,0,1]
	v_pk_add_f32 v[4:5], v[188:189], v[4:5]
	v_pk_add_f32 v[6:7], v[156:157], v[6:7]
	v_mov_b32_e32 v161, v9
	v_pk_fma_f32 v[8:9], v[20:21], s[34:35], v[166:167] neg_lo:[0,0,1] neg_hi:[0,0,1]
	v_pk_add_f32 v[4:5], v[192:193], v[4:5]
	v_pk_add_f32 v[6:7], v[160:161], v[6:7]
	v_mov_b32_e32 v165, v9
	v_pk_add_f32 v[4:5], v[196:197], v[4:5]
	v_pk_add_f32 v[6:7], v[164:165], v[6:7]
	ds_write2_b64 v48, v[4:5], v[6:7] offset0:12 offset1:13
	v_pk_fma_f32 v[6:7], v[42:43], s[30:31], v[98:99] neg_lo:[0,0,1] neg_hi:[0,0,1]
	v_pk_fma_f32 v[4:5], v[46:47], s[10:11], v[90:91] neg_lo:[0,0,1] neg_hi:[0,0,1]
	v_mov_b32_e32 v97, v7
	v_pk_fma_f32 v[6:7], v[40:41], s[24:25], v[102:103] neg_lo:[0,0,1] neg_hi:[0,0,1]
	v_mov_b32_e32 v89, v5
	v_mov_b32_e32 v101, v7
	v_pk_fma_f32 v[6:7], v[38:39], s[34:35], v[108:109] neg_lo:[0,0,1] neg_hi:[0,0,1]
	v_pk_fma_f32 v[4:5], v[44:45], s[16:17], v[62:63] neg_lo:[0,0,1] neg_hi:[0,0,1]
	v_mov_b32_e32 v107, v7
	v_pk_fma_f32 v[6:7], v[28:29], s[6:7], v[112:113] neg_lo:[0,0,1] neg_hi:[0,0,1]
	v_mov_b32_e32 v93, v5
	v_mov_b32_e32 v111, v7
	v_pk_fma_f32 v[6:7], v[2:3], s[12:13], v[116:117] neg_lo:[0,0,1] neg_hi:[0,0,1]
	v_pk_add_f32 v[4:5], v[0:1], v[88:89]
	v_mov_b32_e32 v115, v7
	v_pk_fma_f32 v[6:7], v[20:21], s[18:19], v[120:121] neg_lo:[0,0,1] neg_hi:[0,0,1]
	v_pk_fma_f32 v[8:9], v[42:43], s[16:17], v[66:67] neg_lo:[0,0,1] neg_hi:[0,0,1]
	v_mov_b32_e32 v119, v7
	v_accvgpr_read_b32 v6, a30
	v_accvgpr_read_b32 v7, a31
	v_pk_fma_f32 v[6:7], v[46:47], s[8:9], v[6:7] neg_lo:[0,0,1] neg_hi:[0,0,1]
	v_pk_add_f32 v[4:5], v[92:93], v[4:5]
	v_mov_b32_e32 v57, v7
	v_accvgpr_read_b32 v6, a32
	v_accvgpr_read_b32 v7, a33
	v_pk_fma_f32 v[6:7], v[44:45], s[12:13], v[6:7] neg_lo:[0,0,1] neg_hi:[0,0,1]
	v_mov_b32_e32 v65, v9
	v_mov_b32_e32 v61, v7
	v_pk_add_f32 v[6:7], v[0:1], v[56:57]
	v_pk_fma_f32 v[8:9], v[40:41], s[20:21], v[70:71] neg_lo:[0,0,1] neg_hi:[0,0,1]
	v_pk_add_f32 v[6:7], v[60:61], v[6:7]
	v_pk_add_f32 v[4:5], v[96:97], v[4:5]
	;; [unrolled: 1-line block ×3, first 2 shown]
	v_mov_b32_e32 v69, v9
	v_pk_fma_f32 v[8:9], v[38:39], s[22:23], v[74:75] neg_lo:[0,0,1] neg_hi:[0,0,1]
	v_pk_add_f32 v[4:5], v[100:101], v[4:5]
	v_pk_add_f32 v[6:7], v[68:69], v[6:7]
	v_mov_b32_e32 v73, v9
	v_pk_fma_f32 v[8:9], v[28:29], s[24:25], v[78:79] neg_lo:[0,0,1] neg_hi:[0,0,1]
	v_pk_add_f32 v[4:5], v[106:107], v[4:5]
	v_pk_add_f32 v[6:7], v[72:73], v[6:7]
	;; [unrolled: 4-line block ×4, first 2 shown]
	v_mov_b32_e32 v85, v9
	v_pk_add_f32 v[4:5], v[118:119], v[4:5]
	v_pk_add_f32 v[6:7], v[84:85], v[6:7]
	ds_write2_b64 v48, v[4:5], v[6:7] offset0:14 offset1:15
	v_accvgpr_read_b32 v4, a4
	v_accvgpr_read_b32 v5, a5
	v_pk_fma_f32 v[4:5], v[46:47], s[6:7], v[4:5] neg_lo:[0,0,1] neg_hi:[0,0,1]
	v_accvgpr_read_b32 v64, a0
	v_accvgpr_read_b32 v4, a2
	v_pk_add_f32 v[0:1], v[0:1], v[4:5]
	v_accvgpr_read_b32 v4, a8
	v_accvgpr_read_b32 v5, a9
	v_pk_fma_f32 v[4:5], v[44:45], s[8:9], v[4:5] neg_lo:[0,0,1] neg_hi:[0,0,1]
	s_nop 0
	v_accvgpr_read_b32 v4, a6
	v_pk_add_f32 v[0:1], v[4:5], v[0:1]
	v_accvgpr_read_b32 v4, a12
	v_accvgpr_read_b32 v5, a13
	v_pk_fma_f32 v[4:5], v[42:43], s[10:11], v[4:5] neg_lo:[0,0,1] neg_hi:[0,0,1]
	s_nop 0
	;; [unrolled: 6-line block ×6, first 2 shown]
	v_mov_b32_e32 v51, v3
	v_accvgpr_read_b32 v2, a28
	v_accvgpr_read_b32 v3, a29
	v_pk_fma_f32 v[2:3], v[20:21], s[20:21], v[2:3] neg_lo:[0,0,1] neg_hi:[0,0,1]
	v_pk_add_f32 v[0:1], v[50:51], v[0:1]
	v_mov_b32_e32 v53, v3
	v_pk_add_f32 v[0:1], v[52:53], v[0:1]
	ds_write_b64 v48, v[0:1] offset:128
.LBB0_19:
	s_or_b64 exec, exec, s[2:3]
	s_movk_i32 s2, 0xf1
	v_mul_lo_u16_sdwa v0, v34, s2 dst_sel:DWORD dst_unused:UNUSED_PAD src0_sel:BYTE_0 src1_sel:DWORD
	v_lshrrev_b16_e32 v44, 12, v0
	v_mul_lo_u16_e32 v0, 17, v44
	v_add_u16_e32 v8, 51, v34
	v_sub_u16_e32 v45, v34, v0
	v_mul_lo_u16_sdwa v0, v8, s2 dst_sel:DWORD dst_unused:UNUSED_PAD src0_sel:BYTE_0 src1_sel:DWORD
	v_lshrrev_b16_e32 v46, 12, v0
	v_add_u16_e32 v0, 0x66, v34
	v_mul_lo_u16_sdwa v1, v0, s2 dst_sel:DWORD dst_unused:UNUSED_PAD src0_sel:BYTE_0 src1_sel:DWORD
	v_lshrrev_b16_e32 v47, 12, v1
	v_mul_lo_u16_e32 v1, 17, v47
	v_sub_u16_e32 v48, v0, v1
	v_add_u16_e32 v0, 0x99, v34
	v_mul_lo_u16_sdwa v1, v0, s2 dst_sel:DWORD dst_unused:UNUSED_PAD src0_sel:BYTE_0 src1_sel:DWORD
	v_lshrrev_b16_e32 v49, 12, v1
	v_mov_b32_e32 v12, 4
	v_mul_lo_u16_e32 v1, 17, v49
	v_lshlrev_b32_sdwa v9, v12, v48 dst_sel:DWORD dst_unused:UNUSED_PAD src0_sel:DWORD src1_sel:BYTE_0
	v_sub_u16_e32 v50, v0, v1
	s_waitcnt lgkmcnt(0)
	; wave barrier
	s_waitcnt lgkmcnt(0)
	v_lshlrev_b32_sdwa v10, v12, v50 dst_sel:DWORD dst_unused:UNUSED_PAD src0_sel:DWORD src1_sel:BYTE_0
	global_load_dwordx4 v[0:3], v9, s[4:5]
	global_load_dwordx4 v[4:7], v10, s[4:5]
	v_mul_lo_u16_e32 v9, 17, v46
	v_sub_u16_e32 v51, v8, v9
	v_lshlrev_b32_sdwa v8, v12, v51 dst_sel:DWORD dst_unused:UNUSED_PAD src0_sel:DWORD src1_sel:BYTE_0
	v_lshlrev_b32_sdwa v12, v12, v45 dst_sel:DWORD dst_unused:UNUSED_PAD src0_sel:DWORD src1_sel:BYTE_0
	global_load_dwordx4 v[8:11], v8, s[4:5]
	v_mov_b32_e32 v52, 3
	global_load_dwordx4 v[12:15], v12, s[4:5]
	ds_read2_b64 v[16:19], v200 offset0:204 offset1:255
	ds_read2_b64 v[20:23], v201 offset0:101 offset1:152
	;; [unrolled: 1-line block ×3, first 2 shown]
	ds_read2_b32 v[32:33], v201 offset0:100 offset1:101
	ds_read2_b64 v[28:31], v200 offset0:102 offset1:153
	ds_read_b64 v[42:43], v200 offset:4488
	ds_read2_b64 v[38:41], v200 offset1:51
	v_mul_u32_u24_e32 v53, 0x198, v44
	v_mul_u32_u24_e32 v46, 0x198, v46
	;; [unrolled: 1-line block ×3, first 2 shown]
	v_lshlrev_b32_sdwa v45, v52, v45 dst_sel:DWORD dst_unused:UNUSED_PAD src0_sel:DWORD src1_sel:BYTE_0
	v_lshlrev_b32_sdwa v51, v52, v51 dst_sel:DWORD dst_unused:UNUSED_PAD src0_sel:DWORD src1_sel:BYTE_0
	;; [unrolled: 1-line block ×3, first 2 shown]
	s_waitcnt lgkmcnt(3)
	v_mov_b32_e32 v44, v33
	v_lshlrev_b32_sdwa v50, v52, v50 dst_sel:DWORD dst_unused:UNUSED_PAD src0_sel:DWORD src1_sel:BYTE_0
	v_add3_u32 v62, 0, v53, v45
	v_add3_u32 v51, 0, v46, v51
	;; [unrolled: 1-line block ×3, first 2 shown]
	s_mov_b32 s2, 0x3f5db3d7
	s_mov_b32 s3, 0xbf5db3d7
	v_mul_u32_u24_e32 v49, 0x198, v49
	v_add3_u32 v49, 0, v49, v50
	s_waitcnt lgkmcnt(0)
	; wave barrier
	s_waitcnt vmcnt(3) lgkmcnt(0)
	v_pk_mul_f32 v[44:45], v[44:45], v[0:1] op_sel_hi:[0,1]
	s_waitcnt vmcnt(2)
	v_pk_mul_f32 v[46:47], v[20:21], v[4:5] op_sel:[0,1]
	v_mov_b32_e32 v50, v3
	v_pk_fma_f32 v[60:61], v[20:21], v[4:5], v[46:47] op_sel:[0,0,1] op_sel_hi:[1,1,0] neg_lo:[0,0,1] neg_hi:[0,0,1]
	v_pk_fma_f32 v[4:5], v[20:21], v[4:5], v[46:47] op_sel:[0,0,1] op_sel_hi:[1,0,0]
	v_pk_fma_f32 v[46:47], v[0:1], v[32:33], v[44:45] op_sel:[0,0,1] op_sel_hi:[1,1,0] neg_lo:[0,0,1] neg_hi:[0,0,1]
	s_waitcnt vmcnt(1)
	v_pk_mul_f32 v[52:53], v[8:9], v[18:19] op_sel:[0,1]
	v_pk_mul_f32 v[54:55], v[10:11], v[24:25] op_sel:[0,1]
	s_waitcnt vmcnt(0)
	v_pk_mul_f32 v[56:57], v[12:13], v[16:17] op_sel:[0,1]
	v_pk_mul_f32 v[58:59], v[14:15], v[22:23] op_sel:[0,1]
	v_pk_fma_f32 v[0:1], v[0:1], v[32:33], v[44:45] op_sel:[0,0,1] op_sel_hi:[1,0,0]
	v_pk_fma_f32 v[44:45], v[8:9], v[18:19], v[52:53] op_sel:[0,0,1] op_sel_hi:[1,1,0] neg_lo:[0,0,1] neg_hi:[0,0,1]
	v_pk_fma_f32 v[8:9], v[8:9], v[18:19], v[52:53] op_sel:[0,0,1] op_sel_hi:[1,0,0]
	v_pk_fma_f32 v[18:19], v[10:11], v[24:25], v[54:55] op_sel:[0,0,1] op_sel_hi:[1,1,0] neg_lo:[0,0,1] neg_hi:[0,0,1]
	;; [unrolled: 2-line block ×4, first 2 shown]
	v_pk_fma_f32 v[14:15], v[14:15], v[22:23], v[58:59] op_sel:[0,0,1] op_sel_hi:[1,0,0]
	v_mov_b32_e32 v25, v13
	v_mov_b32_e32 v17, v15
	v_pk_add_f32 v[12:13], v[24:25], v[16:17]
	v_pk_add_f32 v[14:15], v[24:25], v[16:17] neg_lo:[0,1] neg_hi:[0,1]
	v_mov_b32_e32 v19, v11
	v_pk_add_f32 v[10:11], v[38:39], v[24:25]
	v_pk_fma_f32 v[12:13], v[12:13], 0.5, v[38:39] op_sel_hi:[1,0,1] neg_lo:[1,0,0] neg_hi:[1,0,0]
	v_pk_mul_f32 v[14:15], v[14:15], s[2:3] op_sel_hi:[1,0]
	v_pk_add_f32 v[10:11], v[10:11], v[16:17]
	v_pk_add_f32 v[16:17], v[12:13], v[14:15] op_sel:[0,1] op_sel_hi:[1,0]
	v_pk_add_f32 v[12:13], v[12:13], v[14:15] op_sel:[0,1] op_sel_hi:[1,0] neg_lo:[0,1] neg_hi:[0,1]
	v_mov_b32_e32 v45, v9
	v_mov_b32_e32 v14, v16
	;; [unrolled: 1-line block ×4, first 2 shown]
	ds_write2_b64 v62, v[10:11], v[14:15] offset1:17
	ds_write_b64 v62, v[12:13] offset:272
	v_pk_add_f32 v[10:11], v[44:45], v[18:19]
	v_pk_add_f32 v[12:13], v[44:45], v[18:19] neg_lo:[0,1] neg_hi:[0,1]
	v_pk_mul_f32 v[32:33], v[26:27], v[50:51] op_sel_hi:[1,0]
	v_pk_fma_f32 v[10:11], v[10:11], 0.5, v[40:41] op_sel_hi:[1,0,1] neg_lo:[1,0,0] neg_hi:[1,0,0]
	v_pk_mul_f32 v[12:13], v[12:13], s[2:3] op_sel_hi:[1,0]
	v_mov_b32_e32 v47, v1
	v_pk_fma_f32 v[0:1], v[26:27], v[2:3], v[32:33] op_sel:[0,0,1] op_sel_hi:[1,1,0] neg_lo:[0,0,1] neg_hi:[0,0,1]
	v_pk_fma_f32 v[2:3], v[26:27], v[2:3], v[32:33] op_sel:[0,0,1] op_sel_hi:[1,0,0]
	v_pk_add_f32 v[8:9], v[40:41], v[44:45]
	v_pk_add_f32 v[14:15], v[10:11], v[12:13] op_sel:[0,1] op_sel_hi:[1,0]
	v_pk_add_f32 v[10:11], v[10:11], v[12:13] op_sel:[0,1] op_sel_hi:[1,0] neg_lo:[0,1] neg_hi:[0,1]
	v_mov_b32_e32 v1, v3
	v_pk_add_f32 v[2:3], v[28:29], v[46:47]
	v_pk_add_f32 v[8:9], v[8:9], v[18:19]
	v_mov_b32_e32 v12, v14
	v_mov_b32_e32 v13, v11
	;; [unrolled: 1-line block ×3, first 2 shown]
	v_pk_add_f32 v[2:3], v[2:3], v[0:1]
	ds_write2_b64 v51, v[8:9], v[12:13] offset1:17
	v_pk_add_f32 v[8:9], v[46:47], v[0:1]
	v_pk_add_f32 v[0:1], v[46:47], v[0:1] neg_lo:[0,1] neg_hi:[0,1]
	v_pk_mul_f32 v[20:21], v[42:43], v[48:49] op_sel_hi:[1,0]
	v_mov_b32_e32 v11, v15
	v_pk_fma_f32 v[8:9], v[8:9], 0.5, v[28:29] op_sel_hi:[1,0,1] neg_lo:[1,0,0] neg_hi:[1,0,0]
	v_pk_mul_f32 v[0:1], v[0:1], s[2:3] op_sel_hi:[1,0]
	v_mov_b32_e32 v61, v5
	v_pk_fma_f32 v[4:5], v[42:43], v[6:7], v[20:21] op_sel:[0,0,1] op_sel_hi:[1,1,0] neg_lo:[0,0,1] neg_hi:[0,0,1]
	v_pk_fma_f32 v[6:7], v[42:43], v[6:7], v[20:21] op_sel:[0,0,1] op_sel_hi:[1,0,0]
	ds_write_b64 v51, v[10:11] offset:272
	v_pk_add_f32 v[10:11], v[8:9], v[0:1] op_sel:[0,1] op_sel_hi:[1,0]
	v_pk_add_f32 v[0:1], v[8:9], v[0:1] op_sel:[0,1] op_sel_hi:[1,0] neg_lo:[0,1] neg_hi:[0,1]
	v_mov_b32_e32 v5, v7
	v_mov_b32_e32 v8, v10
	;; [unrolled: 1-line block ×4, first 2 shown]
	ds_write2_b64 v63, v[2:3], v[8:9] offset1:17
	ds_write_b64 v63, v[0:1] offset:272
	v_pk_add_f32 v[0:1], v[60:61], v[4:5]
	v_pk_add_f32 v[2:3], v[60:61], v[4:5] neg_lo:[0,1] neg_hi:[0,1]
	v_pk_add_f32 v[6:7], v[30:31], v[60:61]
	v_pk_fma_f32 v[0:1], v[0:1], 0.5, v[30:31] op_sel_hi:[1,0,1] neg_lo:[1,0,0] neg_hi:[1,0,0]
	v_pk_mul_f32 v[2:3], v[2:3], s[2:3] op_sel_hi:[1,0]
	v_pk_add_f32 v[6:7], v[6:7], v[4:5]
	v_pk_add_f32 v[4:5], v[0:1], v[2:3] op_sel:[0,1] op_sel_hi:[1,0]
	v_pk_add_f32 v[0:1], v[0:1], v[2:3] op_sel:[0,1] op_sel_hi:[1,0] neg_lo:[0,1] neg_hi:[0,1]
	v_mov_b32_e32 v2, v4
	v_mov_b32_e32 v3, v1
	;; [unrolled: 1-line block ×3, first 2 shown]
	ds_write_b64 v49, v[0:1] offset:272
	v_mul_u32_u24_e32 v0, 5, v34
	v_lshlrev_b32_e32 v8, 3, v0
	ds_write2_b64 v49, v[6:7], v[2:3] offset1:17
	s_waitcnt lgkmcnt(0)
	; wave barrier
	s_waitcnt lgkmcnt(0)
	global_load_dwordx4 v[0:3], v8, s[4:5] offset:272
	global_load_dwordx4 v[4:7], v8, s[4:5] offset:288
	global_load_dwordx2 v[32:33], v8, s[4:5] offset:304
	ds_read2_b64 v[8:11], v200 offset0:102 offset1:153
	ds_read2_b64 v[12:15], v200 offset0:204 offset1:255
	;; [unrolled: 1-line block ×5, first 2 shown]
	ds_read2_b64 v[28:31], v200 offset1:51
	s_waitcnt lgkmcnt(0)
	; wave barrier
	s_waitcnt vmcnt(2) lgkmcnt(0)
	v_pk_mul_f32 v[38:39], v[0:1], v[8:9] op_sel:[0,1]
	v_pk_mul_f32 v[40:41], v[2:3], v[12:13] op_sel:[0,1]
	s_waitcnt vmcnt(1)
	v_pk_mul_f32 v[42:43], v[4:5], v[16:17] op_sel:[0,1]
	v_pk_mul_f32 v[44:45], v[6:7], v[20:21] op_sel:[0,1]
	s_waitcnt vmcnt(0)
	v_pk_mul_f32 v[46:47], v[32:33], v[24:25] op_sel:[0,1]
	v_pk_fma_f32 v[48:49], v[0:1], v[8:9], v[38:39] op_sel:[0,0,1] op_sel_hi:[1,1,0] neg_lo:[0,0,1] neg_hi:[0,0,1]
	v_pk_fma_f32 v[8:9], v[0:1], v[8:9], v[38:39] op_sel:[0,0,1] op_sel_hi:[1,0,0]
	v_pk_fma_f32 v[38:39], v[2:3], v[12:13], v[40:41] op_sel:[0,0,1] op_sel_hi:[1,1,0] neg_lo:[0,0,1] neg_hi:[0,0,1]
	v_pk_fma_f32 v[12:13], v[2:3], v[12:13], v[40:41] op_sel:[0,0,1] op_sel_hi:[1,0,0]
	;; [unrolled: 2-line block ×5, first 2 shown]
	v_mov_b32_e32 v39, v13
	v_mov_b32_e32 v41, v17
	;; [unrolled: 1-line block ×5, first 2 shown]
	v_pk_add_f32 v[8:9], v[28:29], v[38:39]
	v_pk_add_f32 v[20:21], v[38:39], v[42:43]
	v_pk_add_f32 v[24:25], v[38:39], v[42:43] neg_lo:[0,1] neg_hi:[0,1]
	v_pk_add_f32 v[38:39], v[40:41], v[44:45]
	v_pk_add_f32 v[12:13], v[48:49], v[40:41]
	v_pk_fma_f32 v[20:21], v[20:21], 0.5, v[28:29] op_sel_hi:[1,0,1] neg_lo:[1,0,0] neg_hi:[1,0,0]
	v_pk_mul_f32 v[24:25], v[24:25], s[2:3] op_sel_hi:[1,0]
	v_pk_fma_f32 v[38:39], v[38:39], 0.5, v[48:49] op_sel_hi:[1,0,1] neg_lo:[1,0,0] neg_hi:[1,0,0]
	v_pk_add_f32 v[40:41], v[40:41], v[44:45] neg_lo:[0,1] neg_hi:[0,1]
	v_pk_add_f32 v[8:9], v[8:9], v[42:43]
	v_pk_add_f32 v[28:29], v[24:25], v[20:21] op_sel:[1,0] op_sel_hi:[0,1]
	v_pk_fma_f32 v[42:43], v[40:41], s[2:3], v[38:39] op_sel:[0,0,1] op_sel_hi:[1,0,0]
	v_pk_fma_f32 v[38:39], v[40:41], s[2:3], v[38:39] op_sel:[0,0,1] op_sel_hi:[1,0,0] neg_lo:[1,0,0] neg_hi:[1,0,0]
	v_pk_add_f32 v[20:21], v[20:21], v[24:25] op_sel:[0,1] op_sel_hi:[1,0] neg_lo:[0,1] neg_hi:[0,1]
	v_mov_b32_e32 v25, v29
	v_mov_b32_e32 v40, v42
	;; [unrolled: 1-line block ×3, first 2 shown]
	v_mul_f32_e32 v29, 0xbf5db3d7, v43
	v_mov_b32_e32 v24, v20
	v_mul_f32_e32 v20, 0x3f5db3d7, v38
	v_fmac_f32_e32 v29, 0.5, v38
	v_pk_mul_f32 v[38:39], v[40:41], 0.5 op_sel_hi:[1,0]
	v_pk_add_f32 v[12:13], v[12:13], v[44:45]
	v_pk_fma_f32 v[38:39], v[40:41], s[2:3], v[38:39] op_sel:[0,0,1] op_sel_hi:[1,1,0] neg_lo:[0,0,1] neg_hi:[0,0,1]
	v_pk_add_f32 v[16:17], v[8:9], v[12:13]
	v_fmac_f32_e32 v20, 0.5, v43
	v_pk_add_f32 v[40:41], v[24:25], v[38:39]
	v_pk_add_f32 v[8:9], v[8:9], v[12:13] neg_lo:[0,1] neg_hi:[0,1]
	v_pk_add_f32 v[12:13], v[24:25], v[38:39] neg_lo:[0,1] neg_hi:[0,1]
	v_pk_mul_f32 v[24:25], v[10:11], v[0:1] op_sel:[0,1]
	v_add_f32_e32 v42, v28, v20
	v_add_f32_e32 v43, v21, v29
	v_sub_f32_e32 v20, v28, v20
	v_sub_f32_e32 v21, v21, v29
	v_pk_fma_f32 v[28:29], v[10:11], v[0:1], v[24:25] op_sel:[0,0,1] op_sel_hi:[1,1,0] neg_lo:[0,0,1] neg_hi:[0,0,1]
	v_pk_fma_f32 v[0:1], v[10:11], v[0:1], v[24:25] op_sel:[0,0,1] op_sel_hi:[1,0,0]
	ds_write2_b64 v200, v[16:17], v[42:43] offset1:51
	ds_write2_b64 v200, v[40:41], v[8:9] offset0:102 offset1:153
	ds_write2_b64 v200, v[20:21], v[12:13] offset0:204 offset1:255
	v_mov_b32_e32 v0, v3
	v_mov_b32_e32 v29, v1
	v_pk_mul_f32 v[0:1], v[14:15], v[0:1] op_sel_hi:[1,0]
	s_nop 0
	v_pk_fma_f32 v[10:11], v[14:15], v[2:3], v[0:1] op_sel:[0,0,1] op_sel_hi:[1,1,0] neg_lo:[0,0,1] neg_hi:[0,0,1]
	v_pk_fma_f32 v[0:1], v[14:15], v[2:3], v[0:1] op_sel:[0,0,1] op_sel_hi:[1,0,0]
	s_nop 0
	v_mov_b32_e32 v11, v1
	v_pk_mul_f32 v[0:1], v[18:19], v[4:5] op_sel:[0,1]
	s_nop 0
	v_pk_fma_f32 v[2:3], v[18:19], v[4:5], v[0:1] op_sel:[0,0,1] op_sel_hi:[1,1,0] neg_lo:[0,0,1] neg_hi:[0,0,1]
	v_pk_fma_f32 v[0:1], v[18:19], v[4:5], v[0:1] op_sel:[0,0,1] op_sel_hi:[1,0,0]
	s_nop 0
	v_mov_b32_e32 v0, v7
	v_mov_b32_e32 v3, v1
	v_pk_mul_f32 v[0:1], v[22:23], v[0:1] op_sel_hi:[1,0]
	v_pk_add_f32 v[14:15], v[28:29], v[2:3]
	v_pk_fma_f32 v[4:5], v[22:23], v[6:7], v[0:1] op_sel:[0,0,1] op_sel_hi:[1,1,0] neg_lo:[0,0,1] neg_hi:[0,0,1]
	v_pk_fma_f32 v[0:1], v[22:23], v[6:7], v[0:1] op_sel:[0,0,1] op_sel_hi:[1,0,0]
	s_nop 0
	v_mov_b32_e32 v5, v1
	v_pk_mul_f32 v[0:1], v[26:27], v[32:33] op_sel:[0,1]
	v_pk_add_f32 v[8:9], v[10:11], v[4:5]
	v_pk_fma_f32 v[6:7], v[26:27], v[32:33], v[0:1] op_sel:[0,0,1] op_sel_hi:[1,1,0] neg_lo:[0,0,1] neg_hi:[0,0,1]
	v_pk_fma_f32 v[0:1], v[26:27], v[32:33], v[0:1] op_sel:[0,0,1] op_sel_hi:[1,0,0]
	v_pk_fma_f32 v[8:9], v[8:9], 0.5, v[30:31] op_sel_hi:[1,0,1] neg_lo:[1,0,0] neg_hi:[1,0,0]
	v_mov_b32_e32 v7, v1
	v_pk_add_f32 v[0:1], v[30:31], v[10:11]
	v_pk_add_f32 v[12:13], v[2:3], v[6:7]
	;; [unrolled: 1-line block ×3, first 2 shown]
	v_pk_add_f32 v[4:5], v[10:11], v[4:5] neg_lo:[0,1] neg_hi:[0,1]
	v_pk_fma_f32 v[12:13], v[12:13], 0.5, v[28:29] op_sel_hi:[1,0,1] neg_lo:[1,0,0] neg_hi:[1,0,0]
	v_pk_mul_f32 v[4:5], v[4:5], s[2:3] op_sel_hi:[1,0]
	v_pk_add_f32 v[2:3], v[2:3], v[6:7] neg_lo:[0,1] neg_hi:[0,1]
	v_pk_add_f32 v[14:15], v[14:15], v[6:7]
	v_pk_add_f32 v[10:11], v[4:5], v[8:9] op_sel:[1,0] op_sel_hi:[0,1]
	v_pk_fma_f32 v[6:7], v[2:3], s[2:3], v[12:13] op_sel:[0,0,1] op_sel_hi:[1,0,0]
	v_pk_fma_f32 v[2:3], v[2:3], s[2:3], v[12:13] op_sel:[0,0,1] op_sel_hi:[1,0,0] neg_lo:[1,0,0] neg_hi:[1,0,0]
	v_pk_add_f32 v[4:5], v[8:9], v[4:5] op_sel:[0,1] op_sel_hi:[1,0] neg_lo:[0,1] neg_hi:[0,1]
	v_mov_b32_e32 v9, v11
	v_mov_b32_e32 v12, v6
	;; [unrolled: 1-line block ×3, first 2 shown]
	v_mul_f32_e32 v11, 0xbf5db3d7, v7
	v_mov_b32_e32 v8, v4
	v_mul_f32_e32 v4, 0x3f5db3d7, v2
	v_fmac_f32_e32 v11, 0.5, v2
	v_pk_mul_f32 v[2:3], v[12:13], 0.5 op_sel_hi:[1,0]
	v_pk_add_f32 v[18:19], v[0:1], v[14:15]
	v_pk_fma_f32 v[2:3], v[12:13], s[2:3], v[2:3] op_sel:[0,0,1] op_sel_hi:[1,1,0] neg_lo:[0,0,1] neg_hi:[0,0,1]
	v_fmac_f32_e32 v4, 0.5, v7
	v_pk_add_f32 v[12:13], v[8:9], v[2:3]
	v_pk_add_f32 v[0:1], v[0:1], v[14:15] neg_lo:[0,1] neg_hi:[0,1]
	v_add_f32_e32 v6, v10, v4
	v_add_f32_e32 v7, v5, v11
	v_sub_f32_e32 v4, v10, v4
	v_sub_f32_e32 v5, v5, v11
	ds_write2_b64 v201, v[12:13], v[0:1] offset0:152 offset1:203
	v_pk_add_f32 v[0:1], v[8:9], v[2:3] neg_lo:[0,1] neg_hi:[0,1]
	ds_write2_b64 v64, v[4:5], v[0:1] offset0:126 offset1:177
	v_lshl_add_u64 v[0:1], v[36:37], 3, s[4:5]
	ds_write2_b64 v201, v[18:19], v[6:7] offset0:50 offset1:101
	s_waitcnt lgkmcnt(0)
	; wave barrier
	s_waitcnt lgkmcnt(0)
	global_load_dwordx2 v[16:17], v[0:1], off offset:2312
	v_lshl_add_u64 v[0:1], v[34:35], 3, s[4:5]
	global_load_dwordx2 v[18:19], v[0:1], off offset:2720
	global_load_dwordx2 v[20:21], v[0:1], off offset:3128
	;; [unrolled: 1-line block ×4, first 2 shown]
	s_movk_i32 s2, 0x1000
	v_add_co_u32_e32 v0, vcc, s2, v0
	s_nop 1
	v_addc_co_u32_e32 v1, vcc, 0, v1, vcc
	global_load_dwordx2 v[26:27], v[0:1], off offset:256
	ds_read2_b64 v[0:3], v201 offset0:50 offset1:101
	ds_read2_b64 v[4:7], v201 offset0:152 offset1:203
	;; [unrolled: 1-line block ×3, first 2 shown]
	ds_read2_b64 v[12:15], v200 offset1:51
	s_waitcnt vmcnt(5) lgkmcnt(3)
	v_pk_mul_f32 v[28:29], v[16:17], v[0:1] op_sel:[0,1]
	s_nop 0
	v_pk_fma_f32 v[30:31], v[16:17], v[0:1], v[28:29] op_sel:[0,0,1] op_sel_hi:[1,1,0] neg_lo:[0,0,1] neg_hi:[0,0,1]
	v_pk_fma_f32 v[0:1], v[16:17], v[0:1], v[28:29] op_sel:[0,0,1] op_sel_hi:[1,0,0]
	s_nop 0
	v_mov_b32_e32 v31, v1
	s_waitcnt vmcnt(4)
	v_pk_mul_f32 v[0:1], v[18:19], v[2:3] op_sel:[0,1]
	s_waitcnt lgkmcnt(0)
	v_pk_add_f32 v[16:17], v[12:13], v[30:31] neg_lo:[0,1] neg_hi:[0,1]
	v_pk_fma_f32 v[28:29], v[18:19], v[2:3], v[0:1] op_sel:[0,0,1] op_sel_hi:[1,1,0] neg_lo:[0,0,1] neg_hi:[0,0,1]
	v_pk_fma_f32 v[0:1], v[18:19], v[2:3], v[0:1] op_sel:[0,0,1] op_sel_hi:[1,0,0]
	v_pk_fma_f32 v[12:13], v[12:13], 2.0, v[16:17] op_sel_hi:[1,0,1] neg_lo:[0,0,1] neg_hi:[0,0,1]
	v_mov_b32_e32 v29, v1
	ds_read2_b64 v[0:3], v200 offset0:102 offset1:153
	v_pk_add_f32 v[18:19], v[14:15], v[28:29] neg_lo:[0,1] neg_hi:[0,1]
	s_waitcnt vmcnt(3)
	v_pk_mul_f32 v[28:29], v[20:21], v[4:5] op_sel:[0,1]
	v_pk_fma_f32 v[14:15], v[14:15], 2.0, v[18:19] op_sel_hi:[1,0,1] neg_lo:[0,0,1] neg_hi:[0,0,1]
	v_pk_fma_f32 v[30:31], v[20:21], v[4:5], v[28:29] op_sel:[0,0,1] op_sel_hi:[1,1,0] neg_lo:[0,0,1] neg_hi:[0,0,1]
	v_pk_fma_f32 v[4:5], v[20:21], v[4:5], v[28:29] op_sel:[0,0,1] op_sel_hi:[1,0,0]
	s_nop 0
	v_mov_b32_e32 v31, v5
	s_waitcnt lgkmcnt(0)
	v_pk_add_f32 v[4:5], v[0:1], v[30:31] neg_lo:[0,1] neg_hi:[0,1]
	s_nop 0
	v_pk_fma_f32 v[20:21], v[0:1], 2.0, v[4:5] op_sel_hi:[1,0,1] neg_lo:[0,0,1] neg_hi:[0,0,1]
	s_waitcnt vmcnt(2)
	v_pk_mul_f32 v[0:1], v[22:23], v[6:7] op_sel:[0,1]
	s_nop 0
	v_pk_fma_f32 v[28:29], v[22:23], v[6:7], v[0:1] op_sel:[0,0,1] op_sel_hi:[1,1,0] neg_lo:[0,0,1] neg_hi:[0,0,1]
	v_pk_fma_f32 v[0:1], v[22:23], v[6:7], v[0:1] op_sel:[0,0,1] op_sel_hi:[1,0,0]
	s_nop 0
	v_mov_b32_e32 v29, v1
	v_pk_add_f32 v[6:7], v[2:3], v[28:29] neg_lo:[0,1] neg_hi:[0,1]
	s_waitcnt vmcnt(1)
	v_pk_mul_f32 v[28:29], v[24:25], v[8:9] op_sel:[0,1]
	v_pk_fma_f32 v[22:23], v[2:3], 2.0, v[6:7] op_sel_hi:[1,0,1] neg_lo:[0,0,1] neg_hi:[0,0,1]
	ds_read2_b64 v[0:3], v200 offset0:204 offset1:255
	v_pk_fma_f32 v[30:31], v[24:25], v[8:9], v[28:29] op_sel:[0,0,1] op_sel_hi:[1,1,0] neg_lo:[0,0,1] neg_hi:[0,0,1]
	v_pk_fma_f32 v[8:9], v[24:25], v[8:9], v[28:29] op_sel:[0,0,1] op_sel_hi:[1,0,0]
	s_waitcnt vmcnt(0)
	v_pk_mul_f32 v[24:25], v[10:11], v[26:27] op_sel:[0,1]
	v_mov_b32_e32 v31, v9
	v_pk_fma_f32 v[28:29], v[10:11], v[26:27], v[24:25] op_sel:[0,0,1] op_sel_hi:[1,1,0] neg_lo:[0,0,1] neg_hi:[0,0,1]
	v_pk_fma_f32 v[10:11], v[10:11], v[26:27], v[24:25] op_sel:[0,0,1] op_sel_hi:[1,0,0]
	s_waitcnt lgkmcnt(0)
	v_pk_add_f32 v[8:9], v[0:1], v[30:31] neg_lo:[0,1] neg_hi:[0,1]
	v_mov_b32_e32 v29, v11
	v_pk_add_f32 v[10:11], v[2:3], v[28:29] neg_lo:[0,1] neg_hi:[0,1]
	v_pk_fma_f32 v[0:1], v[0:1], 2.0, v[8:9] op_sel_hi:[1,0,1] neg_lo:[0,0,1] neg_hi:[0,0,1]
	v_pk_fma_f32 v[2:3], v[2:3], 2.0, v[10:11] op_sel_hi:[1,0,1] neg_lo:[0,0,1] neg_hi:[0,0,1]
	s_waitcnt lgkmcnt(0)
	; wave barrier
	ds_write2_b64 v200, v[12:13], v[14:15] offset1:51
	ds_write2_b64 v201, v[16:17], v[18:19] offset0:50 offset1:101
	ds_write2_b64 v200, v[20:21], v[22:23] offset0:102 offset1:153
	ds_write2_b64 v201, v[4:5], v[6:7] offset0:152 offset1:203
	ds_write2_b64 v200, v[0:1], v[2:3] offset0:204 offset1:255
	ds_write2_b64 v64, v[8:9], v[10:11] offset0:126 offset1:177
	s_waitcnt lgkmcnt(0)
	; wave barrier
	s_waitcnt lgkmcnt(0)
	s_and_saveexec_b64 s[2:3], s[0:1]
	s_cbranch_execz .LBB0_21
; %bb.20:
	v_lshl_add_u32 v8, v34, 3, 0
	ds_read2_b64 v[0:3], v8 offset1:51
	v_mov_b32_e32 v35, 0
	v_add_u32_e32 v4, 51, v34
	v_lshl_add_u64 v[6:7], v[34:35], 3, v[202:203]
	v_mov_b32_e32 v5, v35
	s_waitcnt lgkmcnt(0)
	global_store_dwordx2 v[6:7], v[0:1], off
	v_lshl_add_u64 v[0:1], v[4:5], 3, v[202:203]
	ds_read2_b64 v[4:7], v8 offset0:102 offset1:153
	global_store_dwordx2 v[0:1], v[2:3], off
	v_add_u32_e32 v0, 0x66, v34
	v_mov_b32_e32 v1, v35
	v_lshl_add_u64 v[0:1], v[0:1], 3, v[202:203]
	s_waitcnt lgkmcnt(0)
	global_store_dwordx2 v[0:1], v[4:5], off
	v_add_u32_e32 v0, 0x99, v34
	v_mov_b32_e32 v1, v35
	v_lshl_add_u64 v[4:5], v[0:1], 3, v[202:203]
	ds_read2_b64 v[0:3], v8 offset0:204 offset1:255
	global_store_dwordx2 v[4:5], v[6:7], off
	v_add_u32_e32 v4, 0xcc, v34
	v_mov_b32_e32 v5, v35
	v_lshl_add_u64 v[4:5], v[4:5], 3, v[202:203]
	v_add_u32_e32 v9, 0x800, v8
	s_waitcnt lgkmcnt(0)
	global_store_dwordx2 v[4:5], v[0:1], off
	ds_read2_b64 v[4:7], v9 offset0:50 offset1:101
	v_add_u32_e32 v0, 0xff, v34
	v_mov_b32_e32 v1, v35
	v_lshl_add_u64 v[0:1], v[0:1], 3, v[202:203]
	global_store_dwordx2 v[0:1], v[2:3], off
	v_add_u32_e32 v0, 0x132, v34
	v_mov_b32_e32 v1, v35
	v_lshl_add_u64 v[0:1], v[0:1], 3, v[202:203]
	s_waitcnt lgkmcnt(0)
	global_store_dwordx2 v[0:1], v[4:5], off
	v_add_u32_e32 v0, 0x165, v34
	v_mov_b32_e32 v1, v35
	v_lshl_add_u64 v[4:5], v[0:1], 3, v[202:203]
	ds_read2_b64 v[0:3], v9 offset0:152 offset1:203
	global_store_dwordx2 v[4:5], v[6:7], off
	v_add_u32_e32 v4, 0x198, v34
	v_mov_b32_e32 v5, v35
	v_lshl_add_u64 v[4:5], v[4:5], 3, v[202:203]
	s_waitcnt lgkmcnt(0)
	global_store_dwordx2 v[4:5], v[0:1], off
	v_add_u32_e32 v4, 0xc00, v8
	ds_read2_b64 v[4:7], v4 offset0:126 offset1:177
	v_add_u32_e32 v0, 0x1cb, v34
	v_mov_b32_e32 v1, v35
	v_lshl_add_u64 v[0:1], v[0:1], 3, v[202:203]
	global_store_dwordx2 v[0:1], v[2:3], off
	v_add_u32_e32 v0, 0x1fe, v34
	v_mov_b32_e32 v1, v35
	v_lshl_add_u64 v[0:1], v[0:1], 3, v[202:203]
	v_add_u32_e32 v34, 0x231, v34
	s_waitcnt lgkmcnt(0)
	global_store_dwordx2 v[0:1], v[4:5], off
	v_lshl_add_u64 v[0:1], v[34:35], 3, v[202:203]
	global_store_dwordx2 v[0:1], v[6:7], off
.LBB0_21:
	s_endpgm
	.section	.rodata,"a",@progbits
	.p2align	6, 0x0
	.amdhsa_kernel fft_rtc_fwd_len612_factors_17_3_6_2_wgs_51_tpt_51_halfLds_sp_ip_CI_unitstride_sbrr_C2R_dirReg
		.amdhsa_group_segment_fixed_size 0
		.amdhsa_private_segment_fixed_size 0
		.amdhsa_kernarg_size 88
		.amdhsa_user_sgpr_count 2
		.amdhsa_user_sgpr_dispatch_ptr 0
		.amdhsa_user_sgpr_queue_ptr 0
		.amdhsa_user_sgpr_kernarg_segment_ptr 1
		.amdhsa_user_sgpr_dispatch_id 0
		.amdhsa_user_sgpr_kernarg_preload_length 0
		.amdhsa_user_sgpr_kernarg_preload_offset 0
		.amdhsa_user_sgpr_private_segment_size 0
		.amdhsa_uses_dynamic_stack 0
		.amdhsa_enable_private_segment 0
		.amdhsa_system_sgpr_workgroup_id_x 1
		.amdhsa_system_sgpr_workgroup_id_y 0
		.amdhsa_system_sgpr_workgroup_id_z 0
		.amdhsa_system_sgpr_workgroup_info 0
		.amdhsa_system_vgpr_workitem_id 0
		.amdhsa_next_free_vgpr 290
		.amdhsa_next_free_sgpr 66
		.amdhsa_accum_offset 256
		.amdhsa_reserve_vcc 1
		.amdhsa_float_round_mode_32 0
		.amdhsa_float_round_mode_16_64 0
		.amdhsa_float_denorm_mode_32 3
		.amdhsa_float_denorm_mode_16_64 3
		.amdhsa_dx10_clamp 1
		.amdhsa_ieee_mode 1
		.amdhsa_fp16_overflow 0
		.amdhsa_tg_split 0
		.amdhsa_exception_fp_ieee_invalid_op 0
		.amdhsa_exception_fp_denorm_src 0
		.amdhsa_exception_fp_ieee_div_zero 0
		.amdhsa_exception_fp_ieee_overflow 0
		.amdhsa_exception_fp_ieee_underflow 0
		.amdhsa_exception_fp_ieee_inexact 0
		.amdhsa_exception_int_div_zero 0
	.end_amdhsa_kernel
	.text
.Lfunc_end0:
	.size	fft_rtc_fwd_len612_factors_17_3_6_2_wgs_51_tpt_51_halfLds_sp_ip_CI_unitstride_sbrr_C2R_dirReg, .Lfunc_end0-fft_rtc_fwd_len612_factors_17_3_6_2_wgs_51_tpt_51_halfLds_sp_ip_CI_unitstride_sbrr_C2R_dirReg
                                        ; -- End function
	.section	.AMDGPU.csdata,"",@progbits
; Kernel info:
; codeLenInByte = 10376
; NumSgprs: 72
; NumVgprs: 256
; NumAgprs: 34
; TotalNumVgprs: 290
; ScratchSize: 0
; MemoryBound: 0
; FloatMode: 240
; IeeeMode: 1
; LDSByteSize: 0 bytes/workgroup (compile time only)
; SGPRBlocks: 8
; VGPRBlocks: 36
; NumSGPRsForWavesPerEU: 72
; NumVGPRsForWavesPerEU: 290
; AccumOffset: 256
; Occupancy: 1
; WaveLimiterHint : 1
; COMPUTE_PGM_RSRC2:SCRATCH_EN: 0
; COMPUTE_PGM_RSRC2:USER_SGPR: 2
; COMPUTE_PGM_RSRC2:TRAP_HANDLER: 0
; COMPUTE_PGM_RSRC2:TGID_X_EN: 1
; COMPUTE_PGM_RSRC2:TGID_Y_EN: 0
; COMPUTE_PGM_RSRC2:TGID_Z_EN: 0
; COMPUTE_PGM_RSRC2:TIDIG_COMP_CNT: 0
; COMPUTE_PGM_RSRC3_GFX90A:ACCUM_OFFSET: 63
; COMPUTE_PGM_RSRC3_GFX90A:TG_SPLIT: 0
	.text
	.p2alignl 6, 3212836864
	.fill 256, 4, 3212836864
	.type	__hip_cuid_7335485ce309d1aa,@object ; @__hip_cuid_7335485ce309d1aa
	.section	.bss,"aw",@nobits
	.globl	__hip_cuid_7335485ce309d1aa
__hip_cuid_7335485ce309d1aa:
	.byte	0                               ; 0x0
	.size	__hip_cuid_7335485ce309d1aa, 1

	.ident	"AMD clang version 19.0.0git (https://github.com/RadeonOpenCompute/llvm-project roc-6.4.0 25133 c7fe45cf4b819c5991fe208aaa96edf142730f1d)"
	.section	".note.GNU-stack","",@progbits
	.addrsig
	.addrsig_sym __hip_cuid_7335485ce309d1aa
	.amdgpu_metadata
---
amdhsa.kernels:
  - .agpr_count:     34
    .args:
      - .actual_access:  read_only
        .address_space:  global
        .offset:         0
        .size:           8
        .value_kind:     global_buffer
      - .offset:         8
        .size:           8
        .value_kind:     by_value
      - .actual_access:  read_only
        .address_space:  global
        .offset:         16
        .size:           8
        .value_kind:     global_buffer
      - .actual_access:  read_only
        .address_space:  global
        .offset:         24
        .size:           8
        .value_kind:     global_buffer
      - .offset:         32
        .size:           8
        .value_kind:     by_value
      - .actual_access:  read_only
        .address_space:  global
        .offset:         40
        .size:           8
        .value_kind:     global_buffer
      - .actual_access:  read_only
        .address_space:  global
        .offset:         48
        .size:           8
        .value_kind:     global_buffer
      - .offset:         56
        .size:           4
        .value_kind:     by_value
      - .actual_access:  read_only
        .address_space:  global
        .offset:         64
        .size:           8
        .value_kind:     global_buffer
      - .actual_access:  read_only
        .address_space:  global
        .offset:         72
        .size:           8
        .value_kind:     global_buffer
      - .address_space:  global
        .offset:         80
        .size:           8
        .value_kind:     global_buffer
    .group_segment_fixed_size: 0
    .kernarg_segment_align: 8
    .kernarg_segment_size: 88
    .language:       OpenCL C
    .language_version:
      - 2
      - 0
    .max_flat_workgroup_size: 51
    .name:           fft_rtc_fwd_len612_factors_17_3_6_2_wgs_51_tpt_51_halfLds_sp_ip_CI_unitstride_sbrr_C2R_dirReg
    .private_segment_fixed_size: 0
    .sgpr_count:     72
    .sgpr_spill_count: 0
    .symbol:         fft_rtc_fwd_len612_factors_17_3_6_2_wgs_51_tpt_51_halfLds_sp_ip_CI_unitstride_sbrr_C2R_dirReg.kd
    .uniform_work_group_size: 1
    .uses_dynamic_stack: false
    .vgpr_count:     290
    .vgpr_spill_count: 0
    .wavefront_size: 64
amdhsa.target:   amdgcn-amd-amdhsa--gfx950
amdhsa.version:
  - 1
  - 2
...

	.end_amdgpu_metadata
